;; amdgpu-corpus repo=ROCm/rocFFT kind=compiled arch=gfx906 opt=O3
	.text
	.amdgcn_target "amdgcn-amd-amdhsa--gfx906"
	.amdhsa_code_object_version 6
	.protected	bluestein_single_back_len3375_dim1_dp_op_CI_CI ; -- Begin function bluestein_single_back_len3375_dim1_dp_op_CI_CI
	.globl	bluestein_single_back_len3375_dim1_dp_op_CI_CI
	.p2align	8
	.type	bluestein_single_back_len3375_dim1_dp_op_CI_CI,@function
bluestein_single_back_len3375_dim1_dp_op_CI_CI: ; @bluestein_single_back_len3375_dim1_dp_op_CI_CI
; %bb.0:
	s_load_dwordx4 s[12:15], s[4:5], 0x28
	s_mov_b64 s[30:31], s[2:3]
	v_mul_u32_u24_e32 v3, 0x124, v0
	s_mov_b64 s[28:29], s[0:1]
	v_add_u32_sdwa v1, s6, v3 dst_sel:DWORD dst_unused:UNUSED_PAD src0_sel:DWORD src1_sel:WORD_1
	v_mov_b32_e32 v2, 0
	s_add_u32 s28, s28, s7
	s_waitcnt lgkmcnt(0)
	v_cmp_gt_u64_e32 vcc, s[12:13], v[1:2]
	s_addc_u32 s29, s29, 0
	s_and_saveexec_b64 s[0:1], vcc
	s_cbranch_execz .LBB0_2
; %bb.1:
	s_load_dwordx4 s[8:11], s[4:5], 0x0
	s_load_dwordx4 s[16:19], s[4:5], 0x18
	s_load_dwordx2 s[12:13], s[4:5], 0x38
	s_movk_i32 s21, 0x2000
	s_movk_i32 s22, 0x1000
	;; [unrolled: 1-line block ×3, first 2 shown]
	s_waitcnt lgkmcnt(0)
	s_load_dwordx4 s[0:3], s[18:19], 0x0
                                        ; kill: killed $sgpr8_sgpr9
	v_mov_b32_e32 v49, s11
	s_mov_b32 s18, 0xe8584caa
	s_mov_b32 s19, 0x3febb67a
	s_movk_i32 s23, 0x1720
	s_waitcnt lgkmcnt(0)
	v_mad_u64_u32 v[6:7], s[4:5], s2, v1, 0
	s_movk_i32 s24, 0xff6a
	v_mov_b32_e32 v2, v7
	v_mad_u64_u32 v[4:5], s[2:3], s3, v1, v[2:3]
	v_mov_b32_e32 v7, v4
	buffer_store_dword v6, off, s[28:31], 0 ; 4-byte Folded Spill
	s_nop 0
	buffer_store_dword v7, off, s[28:31], 0 offset:4 ; 4-byte Folded Spill
	s_load_dwordx4 s[4:7], s[16:17], 0x0
	s_movk_i32 s16, 0xcd
	s_waitcnt lgkmcnt(0)
	v_mad_u64_u32 v[4:5], s[2:3], s6, v1, 0
	s_movk_i32 s6, 0xe1
	v_mov_b32_e32 v2, v5
	v_mad_u64_u32 v[1:2], s[2:3], s7, v1, v[2:3]
	s_movk_i32 s7, 0x5000
	v_mov_b32_e32 v5, v1
	v_mul_lo_u16_sdwa v1, v3, s6 dst_sel:DWORD dst_unused:UNUSED_PAD src0_sel:WORD_1 src1_sel:DWORD
	v_sub_u16_e32 v95, v0, v1
	v_lshlrev_b32_e32 v48, 4, v95
	global_load_dwordx4 v[10:13], v48, s[8:9]
	v_mad_u64_u32 v[0:1], s[2:3], s4, v95, 0
	v_mov_b32_e32 v100, v95
	v_mad_u64_u32 v[1:2], s[2:3], s5, v95, v[1:2]
	v_lshlrev_b64 v[2:3], 4, v[4:5]
	v_mov_b32_e32 v4, s15
	v_add_co_u32_e32 v2, vcc, s14, v2
	v_lshlrev_b64 v[0:1], 4, v[0:1]
	v_addc_co_u32_e32 v3, vcc, v4, v3, vcc
	v_add_co_u32_e32 v8, vcc, v2, v0
	v_addc_co_u32_e32 v9, vcc, v3, v1, vcc
	global_load_dwordx4 v[0:3], v[8:9], off
	v_add_co_u32_e32 v101, vcc, s8, v48
	v_mov_b32_e32 v4, s9
	v_addc_co_u32_e32 v78, vcc, 0, v4, vcc
	s_movk_i32 s2, 0x2a3
	v_add_co_u32_e32 v76, vcc, s2, v95
	s_mul_i32 s2, s5, 0x2a30
	s_mul_hi_u32 s3, s4, 0x2a30
	s_add_i32 s2, s3, s2
	s_mul_i32 s3, s4, 0x2a30
	v_add_co_u32_e32 v8, vcc, s3, v8
	s_mul_i32 s5, s5, 0xffff6550
	s_sub_i32 s5, s5, s4
	s_mov_b32 s15, 0xbfee6f0e
	s_waitcnt vmcnt(1)
	buffer_store_dword v10, off, s[28:31], 0 offset:24 ; 4-byte Folded Spill
	s_nop 0
	buffer_store_dword v11, off, s[28:31], 0 offset:28 ; 4-byte Folded Spill
	buffer_store_dword v12, off, s[28:31], 0 offset:32 ; 4-byte Folded Spill
	;; [unrolled: 1-line block ×3, first 2 shown]
	s_waitcnt vmcnt(4)
	v_mul_f64 v[4:5], v[2:3], v[12:13]
	v_fma_f64 v[4:5], v[0:1], v[10:11], v[4:5]
	v_mul_f64 v[0:1], v[0:1], v[12:13]
	v_fma_f64 v[6:7], v[2:3], v[10:11], -v[0:1]
	v_mov_b32_e32 v0, s2
	v_addc_co_u32_e32 v9, vcc, v9, v0, vcc
	global_load_dwordx4 v[0:3], v[8:9], off
	ds_write_b128 v48, v[4:7]
	v_add_co_u32_e32 v4, vcc, s21, v101
	v_addc_co_u32_e32 v5, vcc, 0, v78, vcc
	global_load_dwordx4 v[10:13], v[4:5], off offset:2608
	v_add_co_u32_e32 v8, vcc, s3, v8
	s_waitcnt vmcnt(0)
	buffer_store_dword v10, off, s[28:31], 0 offset:40 ; 4-byte Folded Spill
	s_nop 0
	buffer_store_dword v11, off, s[28:31], 0 offset:44 ; 4-byte Folded Spill
	buffer_store_dword v12, off, s[28:31], 0 offset:48 ; 4-byte Folded Spill
	;; [unrolled: 1-line block ×3, first 2 shown]
	v_mul_f64 v[4:5], v[2:3], v[12:13]
	v_fma_f64 v[4:5], v[0:1], v[10:11], v[4:5]
	v_mul_f64 v[0:1], v[0:1], v[12:13]
	v_fma_f64 v[6:7], v[2:3], v[10:11], -v[0:1]
	v_mov_b32_e32 v0, s2
	v_addc_co_u32_e32 v9, vcc, v9, v0, vcc
	global_load_dwordx4 v[0:3], v[8:9], off
	ds_write_b128 v48, v[4:7] offset:10800
	v_add_co_u32_e32 v4, vcc, s7, v101
	v_addc_co_u32_e32 v5, vcc, 0, v78, vcc
	global_load_dwordx4 v[10:13], v[4:5], off offset:1120
	v_add_co_u32_e32 v8, vcc, s3, v8
	s_movk_i32 s7, 0x7000
	s_waitcnt vmcnt(0)
	buffer_store_dword v10, off, s[28:31], 0 offset:56 ; 4-byte Folded Spill
	s_nop 0
	buffer_store_dword v11, off, s[28:31], 0 offset:60 ; 4-byte Folded Spill
	buffer_store_dword v12, off, s[28:31], 0 offset:64 ; 4-byte Folded Spill
	;; [unrolled: 1-line block ×3, first 2 shown]
	v_mul_f64 v[4:5], v[2:3], v[12:13]
	v_fma_f64 v[4:5], v[0:1], v[10:11], v[4:5]
	v_mul_f64 v[0:1], v[0:1], v[12:13]
	v_fma_f64 v[6:7], v[2:3], v[10:11], -v[0:1]
	v_mov_b32_e32 v0, s2
	v_addc_co_u32_e32 v9, vcc, v9, v0, vcc
	v_add_co_u32_e32 v10, vcc, s7, v101
	v_addc_co_u32_e32 v11, vcc, 0, v78, vcc
	global_load_dwordx4 v[12:15], v[10:11], off offset:3728
	global_load_dwordx4 v[0:3], v[8:9], off
	ds_write_b128 v48, v[4:7] offset:21600
	v_add_co_u32_e32 v8, vcc, s3, v8
	s_mov_b32 s7, 0xa000
                                        ; kill: killed $vgpr10 killed $vgpr11
	s_waitcnt vmcnt(1)
	buffer_store_dword v12, off, s[28:31], 0 offset:72 ; 4-byte Folded Spill
	s_nop 0
	buffer_store_dword v13, off, s[28:31], 0 offset:76 ; 4-byte Folded Spill
	buffer_store_dword v14, off, s[28:31], 0 offset:80 ; 4-byte Folded Spill
	;; [unrolled: 1-line block ×3, first 2 shown]
	s_waitcnt vmcnt(4)
	v_mul_f64 v[4:5], v[2:3], v[14:15]
	v_fma_f64 v[4:5], v[0:1], v[12:13], v[4:5]
	v_mul_f64 v[0:1], v[0:1], v[14:15]
	v_fma_f64 v[6:7], v[2:3], v[12:13], -v[0:1]
	v_mov_b32_e32 v0, s2
	v_addc_co_u32_e32 v9, vcc, v9, v0, vcc
	global_load_dwordx4 v[0:3], v[8:9], off
	ds_write_b128 v48, v[4:7] offset:32400
	v_add_co_u32_e32 v4, vcc, s7, v101
	v_addc_co_u32_e32 v5, vcc, 0, v78, vcc
	global_load_dwordx4 v[12:15], v[4:5], off offset:2240
	v_add_co_u32_e32 v79, vcc, s6, v95
	v_addc_co_u32_e64 v81, s[6:7], 0, 0, vcc
	s_waitcnt vmcnt(0)
	buffer_store_dword v12, off, s[28:31], 0 offset:88 ; 4-byte Folded Spill
	s_nop 0
	buffer_store_dword v13, off, s[28:31], 0 offset:92 ; 4-byte Folded Spill
	buffer_store_dword v14, off, s[28:31], 0 offset:96 ; 4-byte Folded Spill
	;; [unrolled: 1-line block ×3, first 2 shown]
	v_mul_f64 v[4:5], v[2:3], v[14:15]
	v_fma_f64 v[4:5], v[0:1], v[12:13], v[4:5]
	v_mul_f64 v[0:1], v[0:1], v[14:15]
	v_fma_f64 v[6:7], v[2:3], v[12:13], -v[0:1]
	v_mov_b32_e32 v0, 0xffff6550
	v_mad_u64_u32 v[8:9], s[6:7], s4, v0, v[8:9]
	s_movk_i32 s6, 0x384
	v_add_co_u32_e32 v77, vcc, s6, v95
	v_add_u32_e32 v9, s5, v9
	ds_write_b128 v48, v[4:7] offset:43200
	global_load_dwordx4 v[0:3], v[8:9], off
	global_load_dwordx4 v[13:16], v48, s[8:9] offset:3600
	v_add_co_u32_e32 v8, vcc, s3, v8
	s_movk_i32 s6, 0x3000
	v_mov_b32_e32 v12, 0xffff6550
	s_mov_b32 s8, 0x4755a5e
	s_mov_b32 s9, 0x3fe2cf23
	s_waitcnt vmcnt(0)
	buffer_store_dword v13, off, s[28:31], 0 offset:104 ; 4-byte Folded Spill
	s_nop 0
	buffer_store_dword v14, off, s[28:31], 0 offset:108 ; 4-byte Folded Spill
	buffer_store_dword v15, off, s[28:31], 0 offset:112 ; 4-byte Folded Spill
	;; [unrolled: 1-line block ×3, first 2 shown]
	v_mul_f64 v[4:5], v[2:3], v[15:16]
	v_fma_f64 v[4:5], v[0:1], v[13:14], v[4:5]
	v_mul_f64 v[0:1], v[0:1], v[15:16]
	v_fma_f64 v[6:7], v[2:3], v[13:14], -v[0:1]
	v_mov_b32_e32 v0, s2
	v_addc_co_u32_e32 v9, vcc, v9, v0, vcc
	global_load_dwordx4 v[0:3], v[8:9], off
	ds_write_b128 v48, v[4:7] offset:3600
	v_add_co_u32_e32 v4, vcc, s6, v101
	v_addc_co_u32_e32 v5, vcc, 0, v78, vcc
	global_load_dwordx4 v[13:16], v[4:5], off offset:2112
	v_add_co_u32_e32 v8, vcc, s3, v8
	s_movk_i32 s6, 0x6000
	s_waitcnt vmcnt(0)
	buffer_store_dword v13, off, s[28:31], 0 offset:120 ; 4-byte Folded Spill
	s_nop 0
	buffer_store_dword v14, off, s[28:31], 0 offset:124 ; 4-byte Folded Spill
	buffer_store_dword v15, off, s[28:31], 0 offset:128 ; 4-byte Folded Spill
	;; [unrolled: 1-line block ×3, first 2 shown]
	v_mul_f64 v[4:5], v[2:3], v[15:16]
	v_fma_f64 v[4:5], v[0:1], v[13:14], v[4:5]
	v_mul_f64 v[0:1], v[0:1], v[15:16]
	v_fma_f64 v[6:7], v[2:3], v[13:14], -v[0:1]
	v_mov_b32_e32 v0, s2
	v_addc_co_u32_e32 v9, vcc, v9, v0, vcc
	global_load_dwordx4 v[0:3], v[8:9], off
	ds_write_b128 v48, v[4:7] offset:14400
	v_add_co_u32_e32 v4, vcc, s6, v101
	v_addc_co_u32_e32 v5, vcc, 0, v78, vcc
	global_load_dwordx4 v[13:16], v[4:5], off offset:624
	v_add_co_u32_e32 v8, vcc, s3, v8
	s_mov_b32 s6, 0x8000
	s_waitcnt vmcnt(0)
	buffer_store_dword v13, off, s[28:31], 0 offset:136 ; 4-byte Folded Spill
	s_nop 0
	buffer_store_dword v14, off, s[28:31], 0 offset:140 ; 4-byte Folded Spill
	buffer_store_dword v15, off, s[28:31], 0 offset:144 ; 4-byte Folded Spill
	;; [unrolled: 1-line block ×3, first 2 shown]
	v_mul_f64 v[4:5], v[2:3], v[15:16]
	v_fma_f64 v[4:5], v[0:1], v[13:14], v[4:5]
	v_mul_f64 v[0:1], v[0:1], v[15:16]
	v_fma_f64 v[6:7], v[2:3], v[13:14], -v[0:1]
	v_mov_b32_e32 v0, s2
	v_addc_co_u32_e32 v9, vcc, v9, v0, vcc
	global_load_dwordx4 v[0:3], v[8:9], off
	ds_write_b128 v48, v[4:7] offset:25200
	v_add_co_u32_e32 v4, vcc, s6, v101
	v_addc_co_u32_e32 v5, vcc, 0, v78, vcc
	global_load_dwordx4 v[13:16], v[4:5], off offset:3232
	v_add_co_u32_e32 v8, vcc, s3, v8
	s_mov_b32 s6, 0xb000
	s_waitcnt vmcnt(0)
	buffer_store_dword v13, off, s[28:31], 0 offset:152 ; 4-byte Folded Spill
	s_nop 0
	buffer_store_dword v14, off, s[28:31], 0 offset:156 ; 4-byte Folded Spill
	buffer_store_dword v15, off, s[28:31], 0 offset:160 ; 4-byte Folded Spill
	;; [unrolled: 1-line block ×3, first 2 shown]
	v_mul_f64 v[4:5], v[2:3], v[15:16]
	v_fma_f64 v[4:5], v[0:1], v[13:14], v[4:5]
	v_mul_f64 v[0:1], v[0:1], v[15:16]
	v_fma_f64 v[6:7], v[2:3], v[13:14], -v[0:1]
	v_mov_b32_e32 v0, s2
	v_addc_co_u32_e32 v9, vcc, v9, v0, vcc
	global_load_dwordx4 v[0:3], v[8:9], off
	ds_write_b128 v48, v[4:7] offset:36000
	v_add_co_u32_e32 v4, vcc, s6, v101
	v_addc_co_u32_e32 v5, vcc, 0, v78, vcc
	global_load_dwordx4 v[13:16], v[4:5], off offset:1744
	s_movk_i32 s6, 0x1c2
	v_add_co_u32_e32 v80, vcc, s6, v95
	v_mad_u64_u32 v[8:9], s[6:7], s4, v12, v[8:9]
	s_mov_b32 s4, 0x9000
	s_mov_b32 s7, 0xbfe2cf23
	v_add_u32_e32 v9, s5, v9
	s_mov_b32 s6, s8
	s_waitcnt vmcnt(0)
	buffer_store_dword v13, off, s[28:31], 0 offset:168 ; 4-byte Folded Spill
	s_nop 0
	buffer_store_dword v14, off, s[28:31], 0 offset:172 ; 4-byte Folded Spill
	buffer_store_dword v15, off, s[28:31], 0 offset:176 ; 4-byte Folded Spill
	;; [unrolled: 1-line block ×3, first 2 shown]
	v_mul_f64 v[4:5], v[2:3], v[15:16]
	v_fma_f64 v[4:5], v[0:1], v[13:14], v[4:5]
	v_mul_f64 v[0:1], v[0:1], v[15:16]
	v_fma_f64 v[6:7], v[2:3], v[13:14], -v[0:1]
	global_load_dwordx4 v[0:3], v[8:9], off
	ds_write_b128 v48, v[4:7] offset:46800
	v_add_co_u32_e32 v4, vcc, s22, v101
	v_addc_co_u32_e32 v5, vcc, 0, v78, vcc
	global_load_dwordx4 v[12:15], v[4:5], off offset:3104
	v_add_co_u32_e32 v8, vcc, s3, v8
	s_waitcnt vmcnt(0)
	buffer_store_dword v12, off, s[28:31], 0 offset:184 ; 4-byte Folded Spill
	s_nop 0
	buffer_store_dword v13, off, s[28:31], 0 offset:188 ; 4-byte Folded Spill
	buffer_store_dword v14, off, s[28:31], 0 offset:192 ; 4-byte Folded Spill
	;; [unrolled: 1-line block ×3, first 2 shown]
	v_mul_f64 v[4:5], v[2:3], v[14:15]
	v_fma_f64 v[4:5], v[0:1], v[12:13], v[4:5]
	v_mul_f64 v[0:1], v[0:1], v[14:15]
	v_fma_f64 v[6:7], v[2:3], v[12:13], -v[0:1]
	v_mov_b32_e32 v0, s2
	v_addc_co_u32_e32 v9, vcc, v9, v0, vcc
	global_load_dwordx4 v[0:3], v[8:9], off
	ds_write_b128 v48, v[4:7] offset:7200
	v_add_co_u32_e32 v4, vcc, s20, v101
	v_addc_co_u32_e32 v5, vcc, 0, v78, vcc
	global_load_dwordx4 v[12:15], v[4:5], off offset:1616
	v_add_co_u32_e32 v8, vcc, s3, v8
	s_waitcnt vmcnt(0)
	buffer_store_dword v12, off, s[28:31], 0 offset:200 ; 4-byte Folded Spill
	s_nop 0
	buffer_store_dword v13, off, s[28:31], 0 offset:204 ; 4-byte Folded Spill
	buffer_store_dword v14, off, s[28:31], 0 offset:208 ; 4-byte Folded Spill
	;; [unrolled: 1-line block ×3, first 2 shown]
	v_mul_f64 v[4:5], v[2:3], v[14:15]
	v_fma_f64 v[4:5], v[0:1], v[12:13], v[4:5]
	v_mul_f64 v[0:1], v[0:1], v[14:15]
	v_fma_f64 v[6:7], v[2:3], v[12:13], -v[0:1]
	v_mov_b32_e32 v0, s2
	v_addc_co_u32_e32 v9, vcc, v9, v0, vcc
	ds_write_b128 v48, v[4:7] offset:18000
	global_load_dwordx4 v[0:3], v[8:9], off
	global_load_dwordx4 v[12:15], v[10:11], off offset:128
	v_add_co_u32_e32 v8, vcc, s3, v8
	s_waitcnt vmcnt(0)
	buffer_store_dword v12, off, s[28:31], 0 offset:216 ; 4-byte Folded Spill
	s_nop 0
	buffer_store_dword v13, off, s[28:31], 0 offset:220 ; 4-byte Folded Spill
	buffer_store_dword v14, off, s[28:31], 0 offset:224 ; 4-byte Folded Spill
	;; [unrolled: 1-line block ×3, first 2 shown]
	v_mul_f64 v[4:5], v[2:3], v[14:15]
	v_fma_f64 v[4:5], v[0:1], v[12:13], v[4:5]
	v_mul_f64 v[0:1], v[0:1], v[14:15]
	v_fma_f64 v[6:7], v[2:3], v[12:13], -v[0:1]
	v_mov_b32_e32 v0, s2
	v_addc_co_u32_e32 v9, vcc, v9, v0, vcc
	global_load_dwordx4 v[0:3], v[8:9], off
	ds_write_b128 v48, v[4:7] offset:28800
	v_add_co_u32_e32 v4, vcc, s4, v101
	v_addc_co_u32_e32 v5, vcc, 0, v78, vcc
	global_load_dwordx4 v[10:13], v[4:5], off offset:2736
	s_mov_b32 s4, 0x134454ff
	s_mov_b32 s5, 0x3fee6f0e
	;; [unrolled: 1-line block ×3, first 2 shown]
	s_waitcnt vmcnt(0)
	buffer_store_dword v10, off, s[28:31], 0 offset:232 ; 4-byte Folded Spill
	s_nop 0
	buffer_store_dword v11, off, s[28:31], 0 offset:236 ; 4-byte Folded Spill
	buffer_store_dword v12, off, s[28:31], 0 offset:240 ; 4-byte Folded Spill
	;; [unrolled: 1-line block ×3, first 2 shown]
	v_mul_f64 v[4:5], v[2:3], v[12:13]
	v_fma_f64 v[4:5], v[0:1], v[10:11], v[4:5]
	v_mul_f64 v[0:1], v[0:1], v[12:13]
	v_fma_f64 v[6:7], v[2:3], v[10:11], -v[0:1]
	v_add_co_u32_e32 v0, vcc, s3, v8
	v_mov_b32_e32 v1, s2
	v_addc_co_u32_e32 v1, vcc, v9, v1, vcc
	s_mov_b32 s2, 0xc000
	global_load_dwordx4 v[0:3], v[0:1], off
	ds_write_b128 v48, v[4:7] offset:39600
	v_add_co_u32_e32 v4, vcc, s2, v101
	v_addc_co_u32_e32 v5, vcc, 0, v78, vcc
	global_load_dwordx4 v[4:7], v[4:5], off offset:1248
	s_mov_b32 s2, 0x372fe950
	s_mov_b32 s3, 0x3fd3c6ef
	s_waitcnt vmcnt(0)
	v_mov_b32_e32 v9, v7
	v_mov_b32_e32 v8, v6
	;; [unrolled: 1-line block ×4, first 2 shown]
	v_mul_f64 v[4:5], v[2:3], v[8:9]
	v_fma_f64 v[4:5], v[0:1], v[6:7], v[4:5]
	v_mul_f64 v[0:1], v[0:1], v[8:9]
	buffer_store_dword v6, off, s[28:31], 0 offset:8 ; 4-byte Folded Spill
	s_nop 0
	buffer_store_dword v7, off, s[28:31], 0 offset:12 ; 4-byte Folded Spill
	buffer_store_dword v8, off, s[28:31], 0 offset:16 ; 4-byte Folded Spill
	;; [unrolled: 1-line block ×3, first 2 shown]
	v_fma_f64 v[6:7], v[2:3], v[6:7], -v[0:1]
	ds_write_b128 v48, v[4:7] offset:50400
	s_waitcnt vmcnt(0) lgkmcnt(0)
	s_barrier
	ds_read_b128 v[20:23], v48
	ds_read_b128 v[50:53], v48 offset:10800
	ds_read_b128 v[54:57], v48 offset:21600
	;; [unrolled: 1-line block ×14, first 2 shown]
	s_waitcnt lgkmcnt(13)
	v_add_f64 v[24:25], v[20:21], v[50:51]
	s_waitcnt lgkmcnt(10)
	v_add_f64 v[26:27], v[52:53], -v[84:85]
	v_add_f64 v[62:63], v[56:57], -v[72:73]
	;; [unrolled: 1-line block ×4, first 2 shown]
	s_waitcnt lgkmcnt(5)
	v_add_f64 v[74:75], v[44:45], -v[36:37]
	s_waitcnt lgkmcnt(0)
	s_barrier
	v_add_f64 v[24:25], v[24:25], v[54:55]
	v_add_f64 v[64:65], v[64:65], v[66:67]
	v_add_f64 v[66:67], v[70:71], -v[82:83]
	v_add_f64 v[24:25], v[24:25], v[70:71]
	v_add_f64 v[60:61], v[24:25], v[82:83]
	;; [unrolled: 1-line block ×3, first 2 shown]
	v_fma_f64 v[24:25], v[24:25], -0.5, v[20:21]
	v_fma_f64 v[58:59], v[26:27], s[4:5], v[24:25]
	v_fma_f64 v[24:25], v[26:27], s[14:15], v[24:25]
	;; [unrolled: 1-line block ×6, first 2 shown]
	v_add_f64 v[24:25], v[50:51], v[82:83]
	v_add_f64 v[58:59], v[54:55], -v[50:51]
	v_add_f64 v[50:51], v[50:51], -v[82:83]
	;; [unrolled: 1-line block ×5, first 2 shown]
	v_fma_f64 v[20:21], v[24:25], -0.5, v[20:21]
	v_add_f64 v[58:59], v[58:59], v[66:67]
	v_add_f64 v[66:67], v[52:53], -v[56:57]
	v_fma_f64 v[24:25], v[62:63], s[14:15], v[20:21]
	v_fma_f64 v[20:21], v[62:63], s[4:5], v[20:21]
	v_add_f64 v[66:67], v[66:67], v[70:71]
	v_fma_f64 v[24:25], v[26:27], s[8:9], v[24:25]
	v_fma_f64 v[20:21], v[26:27], s[6:7], v[20:21]
	v_add_f64 v[26:27], v[22:23], v[52:53]
	;; [unrolled: 3-line block ×3, first 2 shown]
	v_add_f64 v[26:27], v[26:27], v[72:73]
	v_add_f64 v[62:63], v[26:27], v[84:85]
	;; [unrolled: 1-line block ×3, first 2 shown]
	v_fma_f64 v[26:27], v[26:27], -0.5, v[22:23]
	v_fma_f64 v[58:59], v[50:51], s[14:15], v[26:27]
	v_fma_f64 v[26:27], v[50:51], s[4:5], v[26:27]
	;; [unrolled: 1-line block ×6, first 2 shown]
	v_add_f64 v[26:27], v[52:53], v[84:85]
	v_add_f64 v[52:53], v[56:57], -v[52:53]
	v_add_f64 v[56:57], v[72:73], -v[84:85]
	;; [unrolled: 1-line block ×3, first 2 shown]
	v_fma_f64 v[22:23], v[26:27], -0.5, v[22:23]
	v_add_f64 v[52:53], v[52:53], v[56:57]
	v_add_f64 v[56:57], v[28:29], -v[32:33]
	v_fma_f64 v[26:27], v[54:55], s[4:5], v[22:23]
	v_fma_f64 v[22:23], v[54:55], s[14:15], v[22:23]
	v_add_f64 v[54:55], v[30:31], -v[46:47]
	v_add_f64 v[74:75], v[56:57], v[74:75]
	v_fma_f64 v[26:27], v[50:51], s[6:7], v[26:27]
	v_fma_f64 v[22:23], v[50:51], s[8:9], v[22:23]
	v_add_f64 v[50:51], v[40:41], v[28:29]
	v_fma_f64 v[26:27], v[52:53], s[2:3], v[26:27]
	v_fma_f64 v[22:23], v[52:53], s[2:3], v[22:23]
	v_add_f64 v[50:51], v[50:51], v[32:33]
	v_add_f64 v[50:51], v[50:51], v[36:37]
	;; [unrolled: 1-line block ×4, first 2 shown]
	v_fma_f64 v[50:51], v[50:51], -0.5, v[40:41]
	v_fma_f64 v[52:53], v[54:55], s[4:5], v[50:51]
	v_fma_f64 v[50:51], v[54:55], s[14:15], v[50:51]
	;; [unrolled: 1-line block ×6, first 2 shown]
	v_add_f64 v[50:51], v[28:29], v[44:45]
	v_add_f64 v[74:75], v[32:33], -v[28:29]
	v_add_f64 v[28:29], v[28:29], -v[44:45]
	;; [unrolled: 1-line block ×3, first 2 shown]
	v_fma_f64 v[50:51], v[50:51], -0.5, v[40:41]
	v_add_f64 v[74:75], v[74:75], v[82:83]
	v_fma_f64 v[40:41], v[58:59], s[14:15], v[50:51]
	v_fma_f64 v[50:51], v[58:59], s[4:5], v[50:51]
	;; [unrolled: 1-line block ×4, first 2 shown]
	v_add_f64 v[54:55], v[46:47], -v[38:39]
	v_fma_f64 v[40:41], v[74:75], s[2:3], v[40:41]
	v_fma_f64 v[82:83], v[74:75], s[2:3], v[50:51]
	v_add_f64 v[50:51], v[42:43], v[30:31]
	v_add_f64 v[50:51], v[50:51], v[34:35]
	;; [unrolled: 1-line block ×5, first 2 shown]
	v_fma_f64 v[50:51], v[50:51], -0.5, v[42:43]
	v_fma_f64 v[44:45], v[28:29], s[14:15], v[50:51]
	v_fma_f64 v[36:37], v[32:33], s[6:7], v[44:45]
	v_add_f64 v[44:45], v[30:31], -v[34:35]
	v_add_f64 v[44:45], v[44:45], v[54:55]
	v_fma_f64 v[58:59], v[44:45], s[2:3], v[36:37]
	v_fma_f64 v[36:37], v[28:29], s[4:5], v[50:51]
	;; [unrolled: 1-line block ×4, first 2 shown]
	v_add_f64 v[36:37], v[30:31], v[46:47]
	v_add_f64 v[30:31], v[34:35], -v[30:31]
	v_add_f64 v[34:35], v[38:39], -v[46:47]
	;; [unrolled: 1-line block ×5, first 2 shown]
	v_fma_f64 v[36:37], v[36:37], -0.5, v[42:43]
	v_add_f64 v[30:31], v[30:31], v[34:35]
	v_add_f64 v[34:35], v[2:3], -v[14:15]
	v_fma_f64 v[42:43], v[32:33], s[4:5], v[36:37]
	v_fma_f64 v[32:33], v[32:33], s[14:15], v[36:37]
	v_add_f64 v[36:37], v[0:1], -v[4:5]
	v_fma_f64 v[42:43], v[28:29], s[6:7], v[42:43]
	v_fma_f64 v[28:29], v[28:29], s[8:9], v[32:33]
	v_add_f64 v[36:37], v[36:37], v[44:45]
	v_add_f64 v[44:45], v[4:5], -v[0:1]
	v_fma_f64 v[42:43], v[30:31], s[2:3], v[42:43]
	v_fma_f64 v[84:85], v[30:31], s[2:3], v[28:29]
	v_add_f64 v[30:31], v[4:5], v[8:9]
	v_add_f64 v[28:29], v[16:17], v[0:1]
	;; [unrolled: 1-line block ×3, first 2 shown]
	v_fma_f64 v[30:31], v[30:31], -0.5, v[16:17]
	v_add_f64 v[28:29], v[28:29], v[4:5]
	v_add_f64 v[4:5], v[4:5], -v[8:9]
	v_fma_f64 v[32:33], v[34:35], s[4:5], v[30:31]
	v_fma_f64 v[30:31], v[34:35], s[14:15], v[30:31]
	v_add_f64 v[28:29], v[28:29], v[8:9]
	v_fma_f64 v[32:33], v[38:39], s[8:9], v[32:33]
	v_fma_f64 v[30:31], v[38:39], s[6:7], v[30:31]
	v_add_f64 v[28:29], v[28:29], v[12:13]
	;; [unrolled: 3-line block ×3, first 2 shown]
	v_add_f64 v[0:1], v[0:1], -v[12:13]
	v_fma_f64 v[30:31], v[30:31], -0.5, v[16:17]
	v_fma_f64 v[16:17], v[38:39], s[14:15], v[30:31]
	v_fma_f64 v[30:31], v[38:39], s[4:5], v[30:31]
	;; [unrolled: 1-line block ×4, first 2 shown]
	v_add_f64 v[34:35], v[6:7], v[10:11]
	v_fma_f64 v[16:17], v[44:45], s[2:3], v[16:17]
	v_fma_f64 v[44:45], v[44:45], s[2:3], v[30:31]
	v_fma_f64 v[38:39], v[34:35], -0.5, v[18:19]
	v_add_f64 v[34:35], v[14:15], -v[10:11]
	v_add_f64 v[30:31], v[18:19], v[2:3]
	v_fma_f64 v[12:13], v[0:1], s[14:15], v[38:39]
	v_add_f64 v[30:31], v[30:31], v[6:7]
	v_fma_f64 v[8:9], v[4:5], s[6:7], v[12:13]
	v_add_f64 v[12:13], v[2:3], -v[6:7]
	v_add_f64 v[30:31], v[30:31], v[10:11]
	v_add_f64 v[12:13], v[12:13], v[34:35]
	;; [unrolled: 1-line block ×3, first 2 shown]
	v_fma_f64 v[34:35], v[12:13], s[2:3], v[8:9]
	v_fma_f64 v[8:9], v[0:1], s[4:5], v[38:39]
	;; [unrolled: 1-line block ×4, first 2 shown]
	v_add_f64 v[8:9], v[2:3], v[14:15]
	v_add_f64 v[2:3], v[6:7], -v[2:3]
	v_add_f64 v[6:7], v[10:11], -v[14:15]
	v_fma_f64 v[8:9], v[8:9], -0.5, v[18:19]
	v_add_f64 v[2:3], v[2:3], v[6:7]
	v_fma_f64 v[12:13], v[4:5], s[4:5], v[8:9]
	v_fma_f64 v[4:5], v[4:5], s[14:15], v[8:9]
	v_mul_lo_u16_sdwa v8, v95, s16 dst_sel:DWORD dst_unused:UNUSED_PAD src0_sel:BYTE_0 src1_sel:DWORD
	s_mov_b32 s16, 0xcccd
	v_fma_f64 v[12:13], v[0:1], s[6:7], v[12:13]
	v_fma_f64 v[0:1], v[0:1], s[8:9], v[4:5]
	;; [unrolled: 1-line block ×4, first 2 shown]
	v_mul_lo_u16_e32 v0, 5, v95
	v_lshlrev_b32_e32 v0, 4, v0
	buffer_store_dword v0, off, s[28:31], 0 offset:384 ; 4-byte Folded Spill
	ds_write_b128 v0, v[60:63]
	ds_write_b128 v0, v[68:71] offset:16
	ds_write_b128 v0, v[24:27] offset:32
	;; [unrolled: 1-line block ×4, first 2 shown]
	v_mul_u32_u24_e32 v0, 5, v79
	v_lshlrev_b32_e32 v0, 4, v0
	buffer_store_dword v0, off, s[28:31], 0 offset:316 ; 4-byte Folded Spill
	ds_write_b128 v0, v[72:75]
	ds_write_b128 v0, v[56:59] offset:16
	ds_write_b128 v0, v[40:43] offset:32
	;; [unrolled: 1-line block ×4, first 2 shown]
	v_lshrrev_b16_e32 v74, 10, v8
	v_mul_lo_u16_e32 v8, 5, v74
	v_sub_u16_e32 v8, v95, v8
	v_mul_u32_u24_e32 v0, 5, v80
	v_and_b32_e32 v75, 0xff, v8
	v_lshlrev_b32_e32 v0, 4, v0
	v_lshlrev_b32_e32 v8, 6, v75
	buffer_store_dword v0, off, s[28:31], 0 offset:248 ; 4-byte Folded Spill
	ds_write_b128 v0, v[28:31]
	ds_write_b128 v0, v[32:35] offset:16
	ds_write_b128 v0, v[16:19] offset:32
	;; [unrolled: 1-line block ×4, first 2 shown]
	s_waitcnt vmcnt(0) lgkmcnt(0)
	s_barrier
	ds_read_b128 v[10:13], v48
	ds_read_b128 v[26:29], v48 offset:10800
	ds_read_b128 v[30:33], v48 offset:21600
	;; [unrolled: 1-line block ×14, first 2 shown]
	global_load_dwordx4 v[62:65], v8, s[10:11] offset:48
	s_waitcnt vmcnt(0)
	buffer_store_dword v62, off, s[28:31], 0 offset:252 ; 4-byte Folded Spill
	s_nop 0
	buffer_store_dword v63, off, s[28:31], 0 offset:256 ; 4-byte Folded Spill
	buffer_store_dword v64, off, s[28:31], 0 offset:260 ; 4-byte Folded Spill
	buffer_store_dword v65, off, s[28:31], 0 offset:264 ; 4-byte Folded Spill
	global_load_dwordx4 v[82:85], v8, s[10:11] offset:32
	s_waitcnt vmcnt(0)
	buffer_store_dword v82, off, s[28:31], 0 offset:268 ; 4-byte Folded Spill
	s_nop 0
	buffer_store_dword v83, off, s[28:31], 0 offset:272 ; 4-byte Folded Spill
	buffer_store_dword v84, off, s[28:31], 0 offset:276 ; 4-byte Folded Spill
	buffer_store_dword v85, off, s[28:31], 0 offset:280 ; 4-byte Folded Spill
	;; [unrolled: 7-line block ×3, first 2 shown]
	global_load_dwordx4 v[90:93], v8, s[10:11]
	s_waitcnt vmcnt(0)
	buffer_store_dword v90, off, s[28:31], 0 offset:300 ; 4-byte Folded Spill
	s_nop 0
	buffer_store_dword v91, off, s[28:31], 0 offset:304 ; 4-byte Folded Spill
	buffer_store_dword v92, off, s[28:31], 0 offset:308 ; 4-byte Folded Spill
	;; [unrolled: 1-line block ×3, first 2 shown]
	s_waitcnt lgkmcnt(13)
	v_mul_f64 v[8:9], v[28:29], v[92:93]
	v_fma_f64 v[66:67], v[26:27], v[90:91], -v[8:9]
	v_mul_f64 v[8:9], v[26:27], v[92:93]
	v_fma_f64 v[26:27], v[28:29], v[90:91], v[8:9]
	s_waitcnt lgkmcnt(12)
	v_mul_f64 v[8:9], v[32:33], v[72:73]
	v_fma_f64 v[68:69], v[30:31], v[70:71], -v[8:9]
	v_mul_f64 v[8:9], v[30:31], v[72:73]
	v_fma_f64 v[28:29], v[32:33], v[70:71], v[8:9]
	;; [unrolled: 5-line block ×4, first 2 shown]
	v_mul_u32_u24_sdwa v8, v79, s16 dst_sel:DWORD dst_unused:UNUSED_PAD src0_sel:WORD_0 src1_sel:DWORD
	v_lshrrev_b32_e32 v82, 18, v8
	v_mul_lo_u16_e32 v8, 5, v82
	v_sub_u16_e32 v83, v79, v8
	v_lshlrev_b16_e32 v8, 2, v83
	v_lshlrev_b32_e32 v8, 4, v8
	global_load_dwordx4 v[38:41], v8, s[10:11] offset:48
	s_waitcnt vmcnt(0)
	buffer_store_dword v38, off, s[28:31], 0 offset:320 ; 4-byte Folded Spill
	s_nop 0
	buffer_store_dword v39, off, s[28:31], 0 offset:324 ; 4-byte Folded Spill
	buffer_store_dword v40, off, s[28:31], 0 offset:328 ; 4-byte Folded Spill
	buffer_store_dword v41, off, s[28:31], 0 offset:332 ; 4-byte Folded Spill
	global_load_dwordx4 v[96:99], v8, s[10:11] offset:32
	s_waitcnt vmcnt(0)
	buffer_store_dword v96, off, s[28:31], 0 offset:336 ; 4-byte Folded Spill
	s_nop 0
	buffer_store_dword v97, off, s[28:31], 0 offset:340 ; 4-byte Folded Spill
	buffer_store_dword v98, off, s[28:31], 0 offset:344 ; 4-byte Folded Spill
	buffer_store_dword v99, off, s[28:31], 0 offset:348 ; 4-byte Folded Spill
	;; [unrolled: 7-line block ×3, first 2 shown]
	global_load_dwordx4 v[102:105], v8, s[10:11]
	s_waitcnt vmcnt(0)
	buffer_store_dword v102, off, s[28:31], 0 offset:368 ; 4-byte Folded Spill
	s_nop 0
	buffer_store_dword v103, off, s[28:31], 0 offset:372 ; 4-byte Folded Spill
	buffer_store_dword v104, off, s[28:31], 0 offset:376 ; 4-byte Folded Spill
	;; [unrolled: 1-line block ×3, first 2 shown]
	s_waitcnt lgkmcnt(8)
	v_mul_f64 v[8:9], v[44:45], v[104:105]
	v_fma_f64 v[32:33], v[42:43], v[102:103], -v[8:9]
	v_mul_f64 v[8:9], v[42:43], v[104:105]
	v_fma_f64 v[46:47], v[44:45], v[102:103], v[8:9]
	s_waitcnt lgkmcnt(7)
	v_mul_f64 v[8:9], v[52:53], v[64:65]
	v_fma_f64 v[36:37], v[50:51], v[62:63], -v[8:9]
	v_mul_f64 v[8:9], v[50:51], v[64:65]
	v_fma_f64 v[72:73], v[52:53], v[62:63], v[8:9]
	;; [unrolled: 5-line block ×4, first 2 shown]
	v_mul_u32_u24_sdwa v8, v80, s16 dst_sel:DWORD dst_unused:UNUSED_PAD src0_sel:WORD_0 src1_sel:DWORD
	v_lshrrev_b32_e32 v84, 18, v8
	v_mul_lo_u16_e32 v8, 5, v84
	v_sub_u16_e32 v85, v80, v8
	v_lshlrev_b16_e32 v8, 2, v85
	v_lshlrev_b32_e32 v8, 4, v8
	global_load_dwordx4 v[96:99], v8, s[10:11] offset:48
	s_waitcnt vmcnt(0)
	buffer_store_dword v96, off, s[28:31], 0 offset:440 ; 4-byte Folded Spill
	s_nop 0
	buffer_store_dword v97, off, s[28:31], 0 offset:444 ; 4-byte Folded Spill
	buffer_store_dword v98, off, s[28:31], 0 offset:448 ; 4-byte Folded Spill
	;; [unrolled: 1-line block ×3, first 2 shown]
	global_load_dwordx4 v[42:45], v8, s[10:11] offset:32
	global_load_dwordx4 v[58:61], v8, s[10:11] offset:16
	global_load_dwordx4 v[102:105], v8, s[10:11]
	s_waitcnt vmcnt(0)
	buffer_store_dword v102, off, s[28:31], 0 offset:472 ; 4-byte Folded Spill
	s_nop 0
	buffer_store_dword v103, off, s[28:31], 0 offset:476 ; 4-byte Folded Spill
	buffer_store_dword v104, off, s[28:31], 0 offset:480 ; 4-byte Folded Spill
	buffer_store_dword v105, off, s[28:31], 0 offset:484 ; 4-byte Folded Spill
	buffer_store_dword v58, off, s[28:31], 0 offset:488 ; 4-byte Folded Spill
	s_nop 0
	buffer_store_dword v59, off, s[28:31], 0 offset:492 ; 4-byte Folded Spill
	buffer_store_dword v60, off, s[28:31], 0 offset:496 ; 4-byte Folded Spill
	buffer_store_dword v61, off, s[28:31], 0 offset:500 ; 4-byte Folded Spill
	;; [unrolled: 5-line block ×3, first 2 shown]
	s_waitcnt vmcnt(0) lgkmcnt(0)
	s_barrier
	s_movk_i32 s16, 0x47af
	v_mul_f64 v[8:9], v[88:89], v[104:105]
	v_fma_f64 v[54:55], v[86:87], v[102:103], -v[8:9]
	v_mul_f64 v[8:9], v[86:87], v[104:105]
	v_fma_f64 v[38:39], v[88:89], v[102:103], v[8:9]
	v_mul_f64 v[8:9], v[24:25], v[60:61]
	v_mov_b32_e32 v102, v100
	v_fma_f64 v[56:57], v[22:23], v[58:59], -v[8:9]
	v_mul_f64 v[8:9], v[22:23], v[60:61]
	v_add_f64 v[22:23], v[66:67], -v[68:69]
	v_fma_f64 v[40:41], v[24:25], v[58:59], v[8:9]
	v_mul_f64 v[8:9], v[20:21], v[44:45]
	v_add_f64 v[24:25], v[90:91], -v[70:71]
	v_fma_f64 v[58:59], v[18:19], v[42:43], -v[8:9]
	v_mul_f64 v[8:9], v[18:19], v[44:45]
	v_add_f64 v[22:23], v[22:23], v[24:25]
	v_add_f64 v[24:25], v[70:71], -v[90:91]
	v_fma_f64 v[42:43], v[20:21], v[42:43], v[8:9]
	v_mul_f64 v[8:9], v[16:17], v[98:99]
	v_add_f64 v[20:21], v[28:29], -v[30:31]
	v_fma_f64 v[60:61], v[14:15], v[96:97], -v[8:9]
	v_mul_f64 v[8:9], v[14:15], v[98:99]
	v_add_f64 v[14:15], v[68:69], v[70:71]
	v_fma_f64 v[44:45], v[16:17], v[96:97], v[8:9]
	v_fma_f64 v[14:15], v[14:15], -0.5, v[10:11]
	v_add_f64 v[16:17], v[26:27], -v[34:35]
	v_add_f64 v[8:9], v[10:11], v[66:67]
	v_fma_f64 v[18:19], v[16:17], s[4:5], v[14:15]
	v_fma_f64 v[14:15], v[16:17], s[14:15], v[14:15]
	v_add_f64 v[8:9], v[8:9], v[68:69]
	v_fma_f64 v[18:19], v[20:21], s[8:9], v[18:19]
	v_fma_f64 v[14:15], v[20:21], s[6:7], v[14:15]
	v_add_f64 v[8:9], v[8:9], v[70:71]
	v_fma_f64 v[108:109], v[22:23], s[2:3], v[18:19]
	v_add_f64 v[18:19], v[66:67], v[90:91]
	v_fma_f64 v[14:15], v[22:23], s[2:3], v[14:15]
	v_add_f64 v[22:23], v[68:69], -v[66:67]
	v_add_f64 v[8:9], v[8:9], v[90:91]
	v_fma_f64 v[10:11], v[18:19], -0.5, v[10:11]
	v_add_f64 v[24:25], v[22:23], v[24:25]
	v_fma_f64 v[18:19], v[20:21], s[14:15], v[10:11]
	v_fma_f64 v[10:11], v[20:21], s[4:5], v[10:11]
	v_add_f64 v[20:21], v[66:67], -v[90:91]
	v_add_f64 v[66:67], v[68:69], -v[70:71]
	;; [unrolled: 1-line block ×4, first 2 shown]
	v_fma_f64 v[18:19], v[16:17], s[8:9], v[18:19]
	v_fma_f64 v[10:11], v[16:17], s[6:7], v[10:11]
	v_add_f64 v[16:17], v[28:29], v[30:31]
	v_add_f64 v[68:69], v[68:69], v[70:71]
	v_add_f64 v[70:71], v[62:63], -v[64:65]
	v_fma_f64 v[22:23], v[24:25], s[2:3], v[18:19]
	v_fma_f64 v[18:19], v[24:25], s[2:3], v[10:11]
	v_fma_f64 v[16:17], v[16:17], -0.5, v[12:13]
	v_add_f64 v[10:11], v[12:13], v[26:27]
	v_fma_f64 v[24:25], v[20:21], s[14:15], v[16:17]
	v_add_f64 v[10:11], v[10:11], v[28:29]
	v_fma_f64 v[16:17], v[20:21], s[4:5], v[16:17]
	v_fma_f64 v[24:25], v[66:67], s[6:7], v[24:25]
	v_add_f64 v[10:11], v[10:11], v[30:31]
	v_fma_f64 v[16:17], v[66:67], s[8:9], v[16:17]
	v_fma_f64 v[110:111], v[68:69], s[2:3], v[24:25]
	v_add_f64 v[24:25], v[26:27], v[34:35]
	v_add_f64 v[26:27], v[28:29], -v[26:27]
	v_add_f64 v[28:29], v[30:31], -v[34:35]
	v_add_f64 v[10:11], v[10:11], v[34:35]
	v_fma_f64 v[16:17], v[68:69], s[2:3], v[16:17]
	v_add_f64 v[34:35], v[32:33], -v[36:37]
	v_add_f64 v[68:69], v[64:65], -v[62:63]
	v_fma_f64 v[12:13], v[24:25], -0.5, v[12:13]
	v_add_f64 v[26:27], v[26:27], v[28:29]
	v_add_f64 v[28:29], v[46:47], -v[52:53]
	v_add_f64 v[68:69], v[34:35], v[68:69]
	v_fma_f64 v[24:25], v[66:67], s[4:5], v[12:13]
	v_fma_f64 v[12:13], v[66:67], s[14:15], v[12:13]
	v_add_f64 v[66:67], v[72:73], -v[50:51]
	v_fma_f64 v[24:25], v[20:21], s[6:7], v[24:25]
	v_fma_f64 v[12:13], v[20:21], s[8:9], v[12:13]
	;; [unrolled: 1-line block ×4, first 2 shown]
	v_add_f64 v[12:13], v[4:5], v[32:33]
	v_add_f64 v[12:13], v[12:13], v[36:37]
	;; [unrolled: 1-line block ×5, first 2 shown]
	v_add_f64 v[62:63], v[36:37], -v[62:63]
	v_fma_f64 v[12:13], v[12:13], -0.5, v[4:5]
	v_fma_f64 v[30:31], v[28:29], s[4:5], v[12:13]
	v_fma_f64 v[12:13], v[28:29], s[14:15], v[12:13]
	;; [unrolled: 1-line block ×6, first 2 shown]
	v_add_f64 v[12:13], v[32:33], v[64:65]
	v_add_f64 v[68:69], v[36:37], -v[32:33]
	v_add_f64 v[64:65], v[32:33], -v[64:65]
	;; [unrolled: 1-line block ×3, first 2 shown]
	v_fma_f64 v[12:13], v[12:13], -0.5, v[4:5]
	v_add_f64 v[68:69], v[68:69], v[70:71]
	v_add_f64 v[70:71], v[60:61], -v[58:59]
	v_fma_f64 v[4:5], v[66:67], s[14:15], v[12:13]
	v_fma_f64 v[12:13], v[66:67], s[4:5], v[12:13]
	;; [unrolled: 1-line block ×6, first 2 shown]
	v_add_f64 v[12:13], v[6:7], v[46:47]
	v_add_f64 v[68:69], v[52:53], -v[50:51]
	v_add_f64 v[12:13], v[12:13], v[72:73]
	v_add_f64 v[68:69], v[36:37], v[68:69]
	;; [unrolled: 1-line block ×5, first 2 shown]
	v_add_f64 v[50:51], v[50:51], -v[52:53]
	v_fma_f64 v[12:13], v[12:13], -0.5, v[6:7]
	v_fma_f64 v[32:33], v[64:65], s[14:15], v[12:13]
	v_fma_f64 v[12:13], v[64:65], s[4:5], v[12:13]
	;; [unrolled: 1-line block ×6, first 2 shown]
	v_add_f64 v[12:13], v[46:47], v[52:53]
	v_add_f64 v[46:47], v[72:73], -v[46:47]
	v_add_f64 v[72:73], v[58:59], -v[60:61]
	v_fma_f64 v[12:13], v[12:13], -0.5, v[6:7]
	v_add_f64 v[46:47], v[46:47], v[50:51]
	v_fma_f64 v[6:7], v[62:63], s[4:5], v[12:13]
	v_fma_f64 v[12:13], v[62:63], s[14:15], v[12:13]
	v_add_f64 v[62:63], v[54:55], -v[56:57]
	v_fma_f64 v[6:7], v[64:65], s[6:7], v[6:7]
	v_fma_f64 v[12:13], v[64:65], s[8:9], v[12:13]
	v_add_f64 v[64:65], v[40:41], -v[42:43]
	v_add_f64 v[70:71], v[62:63], v[70:71]
	v_fma_f64 v[6:7], v[46:47], s[2:3], v[6:7]
	v_fma_f64 v[68:69], v[46:47], s[2:3], v[12:13]
	v_add_f64 v[12:13], v[0:1], v[54:55]
	v_add_f64 v[46:47], v[38:39], -v[44:45]
	v_add_f64 v[12:13], v[12:13], v[56:57]
	v_add_f64 v[12:13], v[12:13], v[58:59]
	;; [unrolled: 1-line block ×4, first 2 shown]
	v_fma_f64 v[12:13], v[12:13], -0.5, v[0:1]
	v_fma_f64 v[52:53], v[46:47], s[4:5], v[12:13]
	v_fma_f64 v[12:13], v[46:47], s[14:15], v[12:13]
	;; [unrolled: 1-line block ×6, first 2 shown]
	v_add_f64 v[12:13], v[54:55], v[60:61]
	v_add_f64 v[52:53], v[56:57], -v[54:55]
	v_add_f64 v[56:57], v[56:57], -v[58:59]
	v_add_f64 v[58:59], v[38:39], -v[40:41]
	v_fma_f64 v[12:13], v[12:13], -0.5, v[0:1]
	v_add_f64 v[52:53], v[52:53], v[72:73]
	v_fma_f64 v[0:1], v[64:65], s[14:15], v[12:13]
	v_fma_f64 v[12:13], v[64:65], s[4:5], v[12:13]
	v_fma_f64 v[0:1], v[46:47], s[8:9], v[0:1]
	v_fma_f64 v[12:13], v[46:47], s[6:7], v[12:13]
	v_add_f64 v[46:47], v[54:55], -v[60:61]
	v_add_f64 v[60:61], v[44:45], -v[42:43]
	v_fma_f64 v[0:1], v[52:53], s[2:3], v[0:1]
	v_fma_f64 v[86:87], v[52:53], s[2:3], v[12:13]
	v_add_f64 v[12:13], v[2:3], v[38:39]
	v_add_f64 v[58:59], v[58:59], v[60:61]
	;; [unrolled: 1-line block ×6, first 2 shown]
	v_fma_f64 v[12:13], v[12:13], -0.5, v[2:3]
	v_fma_f64 v[54:55], v[46:47], s[14:15], v[12:13]
	v_fma_f64 v[12:13], v[46:47], s[4:5], v[12:13]
	;; [unrolled: 1-line block ×6, first 2 shown]
	v_add_f64 v[12:13], v[38:39], v[44:45]
	v_add_f64 v[38:39], v[40:41], -v[38:39]
	v_add_f64 v[40:41], v[42:43], -v[44:45]
	v_fma_f64 v[12:13], v[12:13], -0.5, v[2:3]
	v_add_f64 v[38:39], v[38:39], v[40:41]
	v_fma_f64 v[2:3], v[56:57], s[4:5], v[12:13]
	v_fma_f64 v[12:13], v[56:57], s[14:15], v[12:13]
	;; [unrolled: 1-line block ×6, first 2 shown]
	v_mul_u32_u24_e32 v12, 25, v74
	v_add_lshl_u32 v12, v12, v75, 4
	buffer_store_dword v12, off, s[28:31], 0 offset:508 ; 4-byte Folded Spill
	ds_write_b128 v12, v[8:11]
	ds_write_b128 v12, v[108:111] offset:80
	ds_write_b128 v12, v[22:25] offset:160
	;; [unrolled: 1-line block ×4, first 2 shown]
	v_mad_legacy_u16 v8, v82, 25, v83
	v_lshlrev_b32_e32 v8, 4, v8
	buffer_store_dword v8, off, s[28:31], 0 offset:504 ; 4-byte Folded Spill
	ds_write_b128 v8, v[26:29]
	ds_write_b128 v8, v[34:37] offset:80
	ds_write_b128 v8, v[4:7] offset:160
	;; [unrolled: 1-line block ×4, first 2 shown]
	v_mov_b32_e32 v8, 41
	v_mul_lo_u16_sdwa v8, v95, v8 dst_sel:DWORD dst_unused:UNUSED_PAD src0_sel:BYTE_0 src1_sel:DWORD
	v_lshrrev_b16_e32 v75, 10, v8
	v_mul_lo_u16_e32 v8, 25, v75
	v_sub_u16_e32 v8, v95, v8
	v_mad_legacy_u16 v4, v84, 25, v85
	v_and_b32_e32 v82, 0xff, v8
	v_lshlrev_b32_e32 v4, 4, v4
	v_lshlrev_b32_e32 v8, 6, v82
	buffer_store_dword v4, off, s[28:31], 0 offset:388 ; 4-byte Folded Spill
	ds_write_b128 v4, v[50:53]
	ds_write_b128 v4, v[62:65] offset:80
	ds_write_b128 v4, v[0:3] offset:160
	;; [unrolled: 1-line block ×4, first 2 shown]
	s_waitcnt vmcnt(0) lgkmcnt(0)
	s_barrier
	ds_read_b128 v[10:13], v48
	ds_read_b128 v[30:33], v48 offset:10800
	ds_read_b128 v[34:37], v48 offset:21600
	;; [unrolled: 1-line block ×14, first 2 shown]
	global_load_dwordx4 v[96:99], v8, s[10:11] offset:368
	s_waitcnt vmcnt(0)
	buffer_store_dword v96, off, s[28:31], 0 offset:392 ; 4-byte Folded Spill
	s_nop 0
	buffer_store_dword v97, off, s[28:31], 0 offset:396 ; 4-byte Folded Spill
	buffer_store_dword v98, off, s[28:31], 0 offset:400 ; 4-byte Folded Spill
	buffer_store_dword v99, off, s[28:31], 0 offset:404 ; 4-byte Folded Spill
	global_load_dwordx4 v[66:69], v8, s[10:11] offset:352
	s_waitcnt vmcnt(0)
	buffer_store_dword v66, off, s[28:31], 0 offset:408 ; 4-byte Folded Spill
	s_nop 0
	buffer_store_dword v67, off, s[28:31], 0 offset:412 ; 4-byte Folded Spill
	buffer_store_dword v68, off, s[28:31], 0 offset:416 ; 4-byte Folded Spill
	buffer_store_dword v69, off, s[28:31], 0 offset:420 ; 4-byte Folded Spill
	;; [unrolled: 7-line block ×3, first 2 shown]
	global_load_dwordx4 v[120:123], v8, s[10:11] offset:320
	s_movk_i32 s11, 0x7d
	s_waitcnt vmcnt(0) lgkmcnt(13)
	v_mul_f64 v[8:9], v[32:33], v[122:123]
	v_fma_f64 v[70:71], v[30:31], v[120:121], -v[8:9]
	v_mul_f64 v[8:9], v[30:31], v[122:123]
	v_fma_f64 v[30:31], v[32:33], v[120:121], v[8:9]
	s_waitcnt lgkmcnt(12)
	v_mul_f64 v[8:9], v[36:37], v[93:94]
	v_fma_f64 v[89:90], v[34:35], v[91:92], -v[8:9]
	v_mul_f64 v[8:9], v[34:35], v[93:94]
	v_fma_f64 v[64:65], v[36:37], v[91:92], v[8:9]
	s_waitcnt lgkmcnt(11)
	;; [unrolled: 5-line block ×3, first 2 shown]
	v_mul_f64 v[8:9], v[44:45], v[98:99]
	v_fma_f64 v[93:94], v[42:43], v[96:97], -v[8:9]
	v_mul_f64 v[8:9], v[42:43], v[98:99]
	v_fma_f64 v[66:67], v[44:45], v[96:97], v[8:9]
	v_mul_u32_u24_sdwa v8, v79, s16 dst_sel:DWORD dst_unused:UNUSED_PAD src0_sel:WORD_0 src1_sel:DWORD
	v_sub_u16_sdwa v9, v79, v8 dst_sel:DWORD dst_unused:UNUSED_PAD src0_sel:DWORD src1_sel:WORD_1
	v_lshrrev_b16_e32 v9, 1, v9
	v_add_u16_sdwa v8, v9, v8 dst_sel:DWORD dst_unused:UNUSED_PAD src0_sel:DWORD src1_sel:WORD_1
	v_lshrrev_b16_e32 v83, 4, v8
	v_mul_lo_u16_e32 v8, 25, v83
	v_sub_u16_e32 v84, v79, v8
	v_lshlrev_b16_e32 v8, 6, v84
	v_add_co_u32_e32 v8, vcc, s10, v8
	v_addc_co_u32_e32 v9, vcc, 0, v49, vcc
	global_load_dwordx4 v[124:127], v[8:9], off offset:368
	global_load_dwordx4 v[128:131], v[8:9], off offset:352
	;; [unrolled: 1-line block ×4, first 2 shown]
	s_waitcnt vmcnt(0) lgkmcnt(8)
	v_mul_f64 v[8:9], v[54:55], v[138:139]
	v_fma_f64 v[50:51], v[52:53], v[136:137], -v[8:9]
	v_mul_f64 v[8:9], v[52:53], v[138:139]
	v_fma_f64 v[42:43], v[54:55], v[136:137], v[8:9]
	s_waitcnt lgkmcnt(7)
	v_mul_f64 v[8:9], v[58:59], v[134:135]
	v_fma_f64 v[52:53], v[56:57], v[132:133], -v[8:9]
	v_mul_f64 v[8:9], v[56:57], v[134:135]
	v_fma_f64 v[44:45], v[58:59], v[132:133], v[8:9]
	s_waitcnt lgkmcnt(6)
	;; [unrolled: 5-line block ×3, first 2 shown]
	v_mul_f64 v[8:9], v[87:88], v[126:127]
	v_fma_f64 v[56:57], v[85:86], v[124:125], -v[8:9]
	v_mul_f64 v[8:9], v[85:86], v[126:127]
	v_fma_f64 v[72:73], v[87:88], v[124:125], v[8:9]
	v_mul_u32_u24_sdwa v8, v80, s16 dst_sel:DWORD dst_unused:UNUSED_PAD src0_sel:WORD_0 src1_sel:DWORD
	v_sub_u16_sdwa v9, v80, v8 dst_sel:DWORD dst_unused:UNUSED_PAD src0_sel:DWORD src1_sel:WORD_1
	v_lshrrev_b16_e32 v9, 1, v9
	v_add_u16_sdwa v8, v9, v8 dst_sel:DWORD dst_unused:UNUSED_PAD src0_sel:DWORD src1_sel:WORD_1
	v_lshrrev_b16_e32 v85, 4, v8
	v_mul_lo_u16_e32 v8, 25, v85
	v_sub_u16_e32 v86, v80, v8
	v_lshlrev_b16_e32 v8, 6, v86
	v_add_co_u32_e32 v8, vcc, s10, v8
	v_addc_co_u32_e32 v9, vcc, 0, v49, vcc
	global_load_dwordx4 v[140:143], v[8:9], off offset:368
	global_load_dwordx4 v[144:147], v[8:9], off offset:352
	;; [unrolled: 1-line block ×4, first 2 shown]
	v_add_f64 v[87:88], v[66:67], -v[32:33]
	s_movk_i32 s16, 0xff83
	s_waitcnt vmcnt(0) lgkmcnt(0)
	s_barrier
	v_mul_f64 v[8:9], v[28:29], v[154:155]
	v_fma_f64 v[58:59], v[26:27], v[152:153], -v[8:9]
	v_mul_f64 v[8:9], v[26:27], v[154:155]
	v_add_f64 v[26:27], v[91:92], -v[93:94]
	v_fma_f64 v[34:35], v[28:29], v[152:153], v[8:9]
	v_mul_f64 v[8:9], v[24:25], v[150:151]
	v_add_f64 v[28:29], v[70:71], -v[93:94]
	v_fma_f64 v[60:61], v[22:23], v[148:149], -v[8:9]
	v_mul_f64 v[8:9], v[22:23], v[150:151]
	v_add_f64 v[22:23], v[70:71], -v[89:90]
	v_fma_f64 v[36:37], v[24:25], v[148:149], v[8:9]
	v_mul_f64 v[8:9], v[20:21], v[146:147]
	v_add_f64 v[24:25], v[93:94], -v[91:92]
	v_fma_f64 v[62:63], v[18:19], v[144:145], -v[8:9]
	v_mul_f64 v[8:9], v[18:19], v[146:147]
	v_add_f64 v[22:23], v[22:23], v[24:25]
	v_add_f64 v[24:25], v[89:90], -v[70:71]
	v_fma_f64 v[38:39], v[20:21], v[144:145], v[8:9]
	v_mul_f64 v[8:9], v[16:17], v[142:143]
	v_add_f64 v[20:21], v[64:65], -v[32:33]
	v_add_f64 v[24:25], v[24:25], v[26:27]
	v_fma_f64 v[68:69], v[14:15], v[140:141], -v[8:9]
	v_mul_f64 v[8:9], v[14:15], v[142:143]
	v_add_f64 v[14:15], v[89:90], v[91:92]
	v_fma_f64 v[40:41], v[16:17], v[140:141], v[8:9]
	v_fma_f64 v[14:15], v[14:15], -0.5, v[10:11]
	v_add_f64 v[16:17], v[30:31], -v[66:67]
	v_add_f64 v[8:9], v[10:11], v[70:71]
	v_fma_f64 v[18:19], v[16:17], s[4:5], v[14:15]
	v_fma_f64 v[14:15], v[16:17], s[14:15], v[14:15]
	v_add_f64 v[8:9], v[8:9], v[89:90]
	v_fma_f64 v[18:19], v[20:21], s[8:9], v[18:19]
	v_fma_f64 v[14:15], v[20:21], s[6:7], v[14:15]
	;; [unrolled: 3-line block ×3, first 2 shown]
	v_add_f64 v[22:23], v[70:71], v[93:94]
	v_add_f64 v[70:71], v[89:90], -v[91:92]
	v_add_f64 v[89:90], v[54:55], -v[56:57]
	v_add_f64 v[8:9], v[8:9], v[93:94]
	v_fma_f64 v[10:11], v[22:23], -0.5, v[10:11]
	v_fma_f64 v[22:23], v[20:21], s[14:15], v[10:11]
	v_fma_f64 v[10:11], v[20:21], s[4:5], v[10:11]
	;; [unrolled: 1-line block ×4, first 2 shown]
	v_add_f64 v[16:17], v[64:65], v[32:33]
	v_fma_f64 v[22:23], v[24:25], s[2:3], v[22:23]
	v_fma_f64 v[26:27], v[24:25], s[2:3], v[10:11]
	v_fma_f64 v[16:17], v[16:17], -0.5, v[12:13]
	v_add_f64 v[24:25], v[30:31], -v[64:65]
	v_add_f64 v[10:11], v[12:13], v[30:31]
	v_fma_f64 v[20:21], v[28:29], s[14:15], v[16:17]
	v_fma_f64 v[16:17], v[28:29], s[4:5], v[16:17]
	v_add_f64 v[24:25], v[24:25], v[87:88]
	v_add_f64 v[10:11], v[10:11], v[64:65]
	v_add_f64 v[87:88], v[56:57], -v[54:55]
	v_fma_f64 v[20:21], v[70:71], s[6:7], v[20:21]
	v_fma_f64 v[16:17], v[70:71], s[8:9], v[16:17]
	v_add_f64 v[10:11], v[10:11], v[32:33]
	v_add_f64 v[32:33], v[32:33], -v[66:67]
	v_fma_f64 v[20:21], v[24:25], s[2:3], v[20:21]
	v_fma_f64 v[16:17], v[24:25], s[2:3], v[16:17]
	v_add_f64 v[24:25], v[30:31], v[66:67]
	v_add_f64 v[30:31], v[64:65], -v[30:31]
	v_add_f64 v[10:11], v[10:11], v[66:67]
	v_add_f64 v[66:67], v[44:45], -v[46:47]
	v_fma_f64 v[12:13], v[24:25], -0.5, v[12:13]
	v_add_f64 v[30:31], v[30:31], v[32:33]
	v_add_f64 v[32:33], v[42:43], -v[72:73]
	v_fma_f64 v[24:25], v[70:71], s[4:5], v[12:13]
	v_fma_f64 v[12:13], v[70:71], s[14:15], v[12:13]
	v_add_f64 v[70:71], v[50:51], -v[52:53]
	v_fma_f64 v[24:25], v[28:29], s[6:7], v[24:25]
	v_fma_f64 v[12:13], v[28:29], s[8:9], v[12:13]
	v_add_f64 v[70:71], v[70:71], v[87:88]
	v_fma_f64 v[24:25], v[30:31], s[2:3], v[24:25]
	v_fma_f64 v[28:29], v[30:31], s[2:3], v[12:13]
	v_add_f64 v[12:13], v[4:5], v[50:51]
	v_add_f64 v[12:13], v[12:13], v[52:53]
	;; [unrolled: 1-line block ×5, first 2 shown]
	v_fma_f64 v[12:13], v[12:13], -0.5, v[4:5]
	v_fma_f64 v[64:65], v[32:33], s[4:5], v[12:13]
	v_fma_f64 v[12:13], v[32:33], s[14:15], v[12:13]
	;; [unrolled: 1-line block ×6, first 2 shown]
	v_add_f64 v[12:13], v[50:51], v[56:57]
	v_add_f64 v[70:71], v[52:53], -v[50:51]
	v_add_f64 v[50:51], v[50:51], -v[56:57]
	v_add_f64 v[52:53], v[52:53], -v[54:55]
	v_fma_f64 v[12:13], v[12:13], -0.5, v[4:5]
	v_add_f64 v[70:71], v[70:71], v[89:90]
	v_fma_f64 v[4:5], v[66:67], s[14:15], v[12:13]
	v_fma_f64 v[12:13], v[66:67], s[4:5], v[12:13]
	v_add_f64 v[66:67], v[72:73], -v[46:47]
	v_fma_f64 v[4:5], v[32:33], s[8:9], v[4:5]
	v_fma_f64 v[12:13], v[32:33], s[6:7], v[12:13]
	;; [unrolled: 1-line block ×4, first 2 shown]
	v_add_f64 v[12:13], v[6:7], v[42:43]
	v_add_f64 v[12:13], v[12:13], v[44:45]
	;; [unrolled: 1-line block ×5, first 2 shown]
	v_fma_f64 v[12:13], v[12:13], -0.5, v[6:7]
	v_fma_f64 v[56:57], v[50:51], s[14:15], v[12:13]
	v_fma_f64 v[12:13], v[50:51], s[4:5], v[12:13]
	;; [unrolled: 1-line block ×3, first 2 shown]
	v_add_f64 v[56:57], v[42:43], -v[44:45]
	v_fma_f64 v[12:13], v[52:53], s[8:9], v[12:13]
	v_add_f64 v[56:57], v[56:57], v[66:67]
	v_fma_f64 v[89:90], v[56:57], s[2:3], v[12:13]
	v_add_f64 v[12:13], v[42:43], v[72:73]
	v_add_f64 v[42:43], v[44:45], -v[42:43]
	v_add_f64 v[44:45], v[46:47], -v[72:73]
	v_fma_f64 v[66:67], v[56:57], s[2:3], v[54:55]
	v_add_f64 v[54:55], v[68:69], -v[62:63]
	v_add_f64 v[56:57], v[62:63], -v[68:69]
	v_fma_f64 v[12:13], v[12:13], -0.5, v[6:7]
	v_add_f64 v[42:43], v[42:43], v[44:45]
	v_add_f64 v[44:45], v[34:35], -v[40:41]
	v_fma_f64 v[6:7], v[52:53], s[4:5], v[12:13]
	v_fma_f64 v[12:13], v[52:53], s[14:15], v[12:13]
	v_add_f64 v[52:53], v[36:37], -v[38:39]
	v_fma_f64 v[6:7], v[50:51], s[6:7], v[6:7]
	v_fma_f64 v[12:13], v[50:51], s[8:9], v[12:13]
	;; [unrolled: 3-line block ×3, first 2 shown]
	v_add_f64 v[12:13], v[0:1], v[58:59]
	v_add_f64 v[54:55], v[50:51], v[54:55]
	;; [unrolled: 1-line block ×6, first 2 shown]
	v_fma_f64 v[12:13], v[12:13], -0.5, v[0:1]
	v_fma_f64 v[46:47], v[44:45], s[4:5], v[12:13]
	v_fma_f64 v[12:13], v[44:45], s[14:15], v[12:13]
	;; [unrolled: 1-line block ×6, first 2 shown]
	v_add_f64 v[12:13], v[58:59], v[68:69]
	v_add_f64 v[46:47], v[60:61], -v[58:59]
	v_fma_f64 v[12:13], v[12:13], -0.5, v[0:1]
	v_add_f64 v[46:47], v[46:47], v[56:57]
	v_add_f64 v[56:57], v[34:35], -v[36:37]
	v_fma_f64 v[0:1], v[52:53], s[14:15], v[12:13]
	v_fma_f64 v[12:13], v[52:53], s[4:5], v[12:13]
	;; [unrolled: 1-line block ×6, first 2 shown]
	v_add_f64 v[12:13], v[2:3], v[34:35]
	v_add_f64 v[46:47], v[58:59], -v[68:69]
	v_add_f64 v[58:59], v[60:61], -v[62:63]
	;; [unrolled: 1-line block ×3, first 2 shown]
	v_add_f64 v[12:13], v[12:13], v[36:37]
	v_add_f64 v[56:57], v[56:57], v[60:61]
	;; [unrolled: 1-line block ×5, first 2 shown]
	v_fma_f64 v[12:13], v[12:13], -0.5, v[2:3]
	v_fma_f64 v[52:53], v[46:47], s[14:15], v[12:13]
	v_fma_f64 v[12:13], v[46:47], s[4:5], v[12:13]
	;; [unrolled: 1-line block ×6, first 2 shown]
	v_add_f64 v[12:13], v[34:35], v[40:41]
	v_add_f64 v[34:35], v[36:37], -v[34:35]
	v_add_f64 v[36:37], v[38:39], -v[40:41]
	v_fma_f64 v[12:13], v[12:13], -0.5, v[2:3]
	v_add_f64 v[34:35], v[34:35], v[36:37]
	v_fma_f64 v[2:3], v[58:59], s[4:5], v[12:13]
	v_fma_f64 v[12:13], v[58:59], s[14:15], v[12:13]
	;; [unrolled: 1-line block ×6, first 2 shown]
	v_mul_u32_u24_e32 v12, 0x7d, v75
	v_add_lshl_u32 v12, v12, v82, 4
	buffer_store_dword v12, off, s[28:31], 0 offset:512 ; 4-byte Folded Spill
	ds_write_b128 v12, v[8:11]
	ds_write_b128 v12, v[18:21] offset:400
	ds_write_b128 v12, v[22:25] offset:800
	;; [unrolled: 1-line block ×4, first 2 shown]
	v_add_co_u32_e32 v20, vcc, s16, v95
	v_addc_co_u32_e64 v21, s[16:17], 0, -1, vcc
	v_cmp_gt_u16_e32 vcc, s11, v95
	v_cndmask_b32_e64 v21, v21, 0, vcc
	v_cndmask_b32_e32 v20, v20, v95, vcc
	v_mad_legacy_u16 v8, v83, s11, v84
	v_lshlrev_b64 v[46:47], 5, v[20:21]
	v_lshlrev_b32_e32 v8, 4, v8
	buffer_store_dword v8, off, s[28:31], 0 offset:516 ; 4-byte Folded Spill
	ds_write_b128 v8, v[30:33]
	ds_write_b128 v8, v[64:67] offset:400
	ds_write_b128 v8, v[4:7] offset:800
	;; [unrolled: 1-line block ×4, first 2 shown]
	v_mad_legacy_u16 v4, v85, s11, v86
	v_add_co_u32_e32 v46, vcc, s10, v46
	v_lshlrev_b32_e32 v4, 4, v4
	v_addc_co_u32_e32 v47, vcc, v49, v47, vcc
	buffer_store_dword v4, off, s[28:31], 0 offset:520 ; 4-byte Folded Spill
	ds_write_b128 v4, v[42:45]
	ds_write_b128 v4, v[50:53] offset:400
	ds_write_b128 v4, v[0:3] offset:800
	;; [unrolled: 1-line block ×4, first 2 shown]
	s_waitcnt vmcnt(0) lgkmcnt(0)
	s_barrier
	ds_read_b128 v[16:19], v48
	ds_read_b128 v[22:25], v48 offset:18000
	ds_read_b128 v[26:29], v48 offset:36000
	;; [unrolled: 1-line block ×14, first 2 shown]
	global_load_dwordx4 v[156:159], v[46:47], off offset:1936
	global_load_dwordx4 v[160:163], v[46:47], off offset:1920
	s_movk_i32 s11, 0x625
	s_mov_b32 s17, 0xbfebb67a
	s_mov_b32 s16, s18
	s_waitcnt vmcnt(0) lgkmcnt(13)
	v_mul_f64 v[46:47], v[24:25], v[162:163]
	v_fma_f64 v[46:47], v[22:23], v[160:161], -v[46:47]
	v_mul_f64 v[21:22], v[22:23], v[162:163]
	v_fma_f64 v[66:67], v[24:25], v[160:161], v[21:22]
	s_waitcnt lgkmcnt(12)
	v_mul_f64 v[21:22], v[28:29], v[158:159]
	v_fma_f64 v[68:69], v[26:27], v[156:157], -v[21:22]
	v_mul_f64 v[21:22], v[26:27], v[158:159]
	v_fma_f64 v[70:71], v[28:29], v[156:157], v[21:22]
	v_mul_u32_u24_sdwa v21, v79, s11 dst_sel:DWORD dst_unused:UNUSED_PAD src0_sel:WORD_0 src1_sel:DWORD
	v_sub_u16_sdwa v22, v79, v21 dst_sel:DWORD dst_unused:UNUSED_PAD src0_sel:DWORD src1_sel:WORD_1
	v_lshrrev_b16_e32 v22, 1, v22
	v_add_u16_sdwa v21, v22, v21 dst_sel:DWORD dst_unused:UNUSED_PAD src0_sel:DWORD src1_sel:WORD_1
	v_lshrrev_b16_e32 v21, 6, v21
	v_mul_lo_u16_e32 v22, 0x7d, v21
	v_sub_u16_e32 v22, v79, v22
	v_lshlrev_b16_e32 v23, 5, v22
	v_add_co_u32_e32 v23, vcc, s10, v23
	v_addc_co_u32_e32 v24, vcc, 0, v49, vcc
	global_load_dwordx4 v[164:167], v[23:24], off offset:1936
	global_load_dwordx4 v[168:171], v[23:24], off offset:1920
	s_waitcnt vmcnt(0) lgkmcnt(10)
	v_mul_f64 v[23:24], v[32:33], v[170:171]
	v_fma_f64 v[72:73], v[30:31], v[168:169], -v[23:24]
	v_mul_f64 v[23:24], v[30:31], v[170:171]
	v_add_f64 v[29:30], v[46:47], v[68:69]
	v_fma_f64 v[82:83], v[32:33], v[168:169], v[23:24]
	s_waitcnt lgkmcnt(9)
	v_mul_f64 v[23:24], v[36:37], v[166:167]
	v_fma_f64 v[29:30], v[29:30], -0.5, v[16:17]
	v_add_f64 v[31:32], v[66:67], -v[70:71]
	v_fma_f64 v[84:85], v[34:35], v[164:165], -v[23:24]
	v_mul_f64 v[23:24], v[34:35], v[166:167]
	v_add_f64 v[33:34], v[66:67], v[70:71]
	v_fma_f64 v[86:87], v[36:37], v[164:165], v[23:24]
	v_mul_u32_u24_sdwa v23, v80, s11 dst_sel:DWORD dst_unused:UNUSED_PAD src0_sel:WORD_0 src1_sel:DWORD
	v_sub_u16_sdwa v24, v80, v23 dst_sel:DWORD dst_unused:UNUSED_PAD src0_sel:DWORD src1_sel:WORD_1
	v_lshrrev_b16_e32 v24, 1, v24
	v_add_u16_sdwa v23, v24, v23 dst_sel:DWORD dst_unused:UNUSED_PAD src0_sel:DWORD src1_sel:WORD_1
	v_lshrrev_b16_e32 v23, 6, v23
	v_mul_lo_u16_e32 v24, 0x7d, v23
	v_sub_u16_e32 v24, v80, v24
	v_lshlrev_b16_e32 v25, 5, v24
	v_add_co_u32_e32 v25, vcc, s10, v25
	v_addc_co_u32_e32 v26, vcc, 0, v49, vcc
	global_load_dwordx4 v[172:175], v[25:26], off offset:1936
	global_load_dwordx4 v[176:179], v[25:26], off offset:1920
	v_add_f64 v[35:36], v[46:47], -v[68:69]
	v_fma_f64 v[33:34], v[33:34], -0.5, v[18:19]
	s_waitcnt vmcnt(0) lgkmcnt(7)
	v_mul_f64 v[25:26], v[40:41], v[178:179]
	v_fma_f64 v[88:89], v[38:39], v[176:177], -v[25:26]
	v_mul_f64 v[25:26], v[38:39], v[178:179]
	v_add_f64 v[37:38], v[72:73], v[84:85]
	v_fma_f64 v[90:91], v[40:41], v[176:177], v[25:26]
	s_waitcnt lgkmcnt(6)
	v_mul_f64 v[25:26], v[44:45], v[174:175]
	v_fma_f64 v[37:38], v[37:38], -0.5, v[12:13]
	v_add_f64 v[39:40], v[82:83], -v[86:87]
	v_fma_f64 v[92:93], v[42:43], v[172:173], -v[25:26]
	v_mul_f64 v[25:26], v[42:43], v[174:175]
	v_add_f64 v[41:42], v[82:83], v[86:87]
	v_fma_f64 v[94:95], v[44:45], v[172:173], v[25:26]
	v_mul_u32_u24_sdwa v25, v76, s11 dst_sel:DWORD dst_unused:UNUSED_PAD src0_sel:WORD_0 src1_sel:DWORD
	v_sub_u16_sdwa v26, v76, v25 dst_sel:DWORD dst_unused:UNUSED_PAD src0_sel:DWORD src1_sel:WORD_1
	v_lshrrev_b16_e32 v26, 1, v26
	v_add_u16_sdwa v25, v26, v25 dst_sel:DWORD dst_unused:UNUSED_PAD src0_sel:DWORD src1_sel:WORD_1
	v_lshrrev_b16_e32 v25, 6, v25
	v_mul_lo_u16_e32 v26, 0x7d, v25
	v_sub_u16_e32 v26, v76, v26
	v_lshlrev_b16_e32 v27, 5, v26
	v_add_co_u32_e32 v27, vcc, s10, v27
	v_addc_co_u32_e32 v28, vcc, 0, v49, vcc
	global_load_dwordx4 v[180:183], v[27:28], off offset:1936
	global_load_dwordx4 v[184:187], v[27:28], off offset:1920
	v_fma_f64 v[41:42], v[41:42], -0.5, v[14:15]
	v_add_f64 v[43:44], v[72:73], -v[84:85]
	s_waitcnt vmcnt(0) lgkmcnt(4)
	v_mul_f64 v[27:28], v[52:53], v[186:187]
	v_fma_f64 v[96:97], v[50:51], v[184:185], -v[27:28]
	v_mul_f64 v[27:28], v[50:51], v[186:187]
	v_add_f64 v[50:51], v[90:91], -v[94:95]
	v_fma_f64 v[98:99], v[52:53], v[184:185], v[27:28]
	s_waitcnt lgkmcnt(3)
	v_mul_f64 v[27:28], v[56:57], v[182:183]
	v_add_f64 v[52:53], v[90:91], v[94:95]
	v_fma_f64 v[196:197], v[54:55], v[180:181], -v[27:28]
	v_mul_f64 v[27:28], v[54:55], v[182:183]
	v_fma_f64 v[52:53], v[52:53], -0.5, v[10:11]
	v_add_f64 v[54:55], v[88:89], -v[92:93]
	v_fma_f64 v[198:199], v[56:57], v[180:181], v[27:28]
	v_mul_u32_u24_sdwa v27, v77, s11 dst_sel:DWORD dst_unused:UNUSED_PAD src0_sel:WORD_0 src1_sel:DWORD
	v_sub_u16_sdwa v28, v77, v27 dst_sel:DWORD dst_unused:UNUSED_PAD src0_sel:DWORD src1_sel:WORD_1
	v_lshrrev_b16_e32 v28, 1, v28
	v_add_u16_sdwa v27, v28, v27 dst_sel:DWORD dst_unused:UNUSED_PAD src0_sel:DWORD src1_sel:WORD_1
	v_lshrrev_b16_e32 v74, 6, v27
	v_mul_lo_u16_e32 v27, 0x7d, v74
	v_sub_u16_e32 v75, v77, v27
	v_lshlrev_b16_e32 v27, 5, v75
	v_add_co_u32_e32 v27, vcc, s10, v27
	v_addc_co_u32_e32 v28, vcc, 0, v49, vcc
	global_load_dwordx4 v[188:191], v[27:28], off offset:1936
	global_load_dwordx4 v[192:195], v[27:28], off offset:1920
	v_add_f64 v[56:57], v[96:97], v[196:197]
	s_movk_i32 s11, 0x7c
	v_cmp_lt_u16_e32 vcc, s11, v100
	s_movk_i32 s11, 0x177
	s_waitcnt vmcnt(0) lgkmcnt(0)
	s_barrier
	v_fma_f64 v[56:57], v[56:57], -0.5, v[4:5]
	v_mul_f64 v[27:28], v[60:61], v[194:195]
	v_fma_f64 v[200:201], v[58:59], v[192:193], -v[27:28]
	v_mul_f64 v[27:28], v[58:59], v[194:195]
	v_add_f64 v[58:59], v[98:99], -v[198:199]
	v_fma_f64 v[202:203], v[60:61], v[192:193], v[27:28]
	v_mul_f64 v[27:28], v[64:65], v[190:191]
	v_add_f64 v[60:61], v[98:99], v[198:199]
	v_fma_f64 v[204:205], v[62:63], v[188:189], -v[27:28]
	v_mul_f64 v[27:28], v[62:63], v[190:191]
	v_fma_f64 v[60:61], v[60:61], -0.5, v[6:7]
	v_add_f64 v[62:63], v[96:97], -v[196:197]
	v_fma_f64 v[206:207], v[64:65], v[188:189], v[27:28]
	v_add_f64 v[27:28], v[16:17], v[46:47]
	v_add_f64 v[45:46], v[88:89], v[92:93]
	;; [unrolled: 1-line block ×3, first 2 shown]
	v_fma_f64 v[16:17], v[31:32], s[18:19], v[29:30]
	v_fma_f64 v[31:32], v[31:32], s[16:17], v[29:30]
	v_add_f64 v[29:30], v[18:19], v[66:67]
	v_fma_f64 v[18:19], v[35:36], s[16:17], v[33:34]
	v_add_f64 v[66:67], v[202:203], -v[206:207]
	v_add_f64 v[27:28], v[27:28], v[68:69]
	v_fma_f64 v[45:46], v[45:46], -0.5, v[8:9]
	v_fma_f64 v[64:65], v[64:65], -0.5, v[0:1]
	v_add_f64 v[68:69], v[202:203], v[206:207]
	v_fma_f64 v[33:34], v[35:36], s[18:19], v[33:34]
	v_add_f64 v[35:36], v[12:13], v[72:73]
	v_fma_f64 v[12:13], v[39:40], s[18:19], v[37:38]
	v_fma_f64 v[39:40], v[39:40], s[16:17], v[37:38]
	v_add_f64 v[37:38], v[14:15], v[82:83]
	v_fma_f64 v[14:15], v[43:44], s[16:17], v[41:42]
	v_fma_f64 v[41:42], v[43:44], s[18:19], v[41:42]
	v_add_f64 v[43:44], v[8:9], v[88:89]
	v_fma_f64 v[8:9], v[50:51], s[18:19], v[45:46]
	v_fma_f64 v[50:51], v[50:51], s[16:17], v[45:46]
	v_add_f64 v[45:46], v[10:11], v[90:91]
	v_fma_f64 v[10:11], v[54:55], s[16:17], v[52:53]
	v_fma_f64 v[52:53], v[54:55], s[18:19], v[52:53]
	v_add_f64 v[54:55], v[4:5], v[96:97]
	v_fma_f64 v[4:5], v[58:59], s[18:19], v[56:57]
	v_fma_f64 v[58:59], v[58:59], s[16:17], v[56:57]
	v_add_f64 v[56:57], v[6:7], v[98:99]
	v_add_f64 v[29:30], v[29:30], v[70:71]
	v_fma_f64 v[6:7], v[62:63], s[16:17], v[60:61]
	v_fma_f64 v[60:61], v[62:63], s[18:19], v[60:61]
	v_add_f64 v[62:63], v[0:1], v[200:201]
	v_fma_f64 v[0:1], v[66:67], s[18:19], v[64:65]
	v_fma_f64 v[66:67], v[66:67], s[16:17], v[64:65]
	v_add_f64 v[64:65], v[2:3], v[202:203]
	v_fma_f64 v[68:69], v[68:69], -0.5, v[2:3]
	v_add_f64 v[70:71], v[200:201], -v[204:205]
	v_add_f64 v[35:36], v[35:36], v[84:85]
	v_add_f64 v[37:38], v[37:38], v[86:87]
	;; [unrolled: 1-line block ×4, first 2 shown]
	v_mov_b32_e32 v47, 0x177
	v_add_f64 v[54:55], v[54:55], v[196:197]
	v_add_f64 v[56:57], v[56:57], v[198:199]
	v_cndmask_b32_e32 v47, 0, v47, vcc
	v_add_lshl_u32 v20, v20, v47, 4
	v_add_f64 v[62:63], v[62:63], v[204:205]
	v_add_f64 v[64:65], v[64:65], v[206:207]
	buffer_store_dword v20, off, s[28:31], 0 offset:524 ; 4-byte Folded Spill
	ds_write_b128 v20, v[27:30]
	ds_write_b128 v20, v[16:19] offset:2000
	ds_write_b128 v20, v[31:34] offset:4000
	v_mad_legacy_u16 v16, v21, s11, v22
	v_fma_f64 v[2:3], v[70:71], s[16:17], v[68:69]
	v_lshlrev_b32_e32 v16, 4, v16
	v_fma_f64 v[68:69], v[70:71], s[18:19], v[68:69]
	buffer_store_dword v16, off, s[28:31], 0 offset:528 ; 4-byte Folded Spill
	ds_write_b128 v16, v[35:38]
	ds_write_b128 v16, v[12:15] offset:2000
	ds_write_b128 v16, v[39:42] offset:4000
	v_mad_legacy_u16 v12, v23, s11, v24
	v_lshlrev_b32_e32 v12, 4, v12
	v_lshlrev_b32_e32 v16, 5, v100
	buffer_store_dword v12, off, s[28:31], 0 offset:532 ; 4-byte Folded Spill
	ds_write_b128 v12, v[43:46]
	ds_write_b128 v12, v[8:11] offset:2000
	ds_write_b128 v12, v[50:53] offset:4000
	v_mad_legacy_u16 v8, v25, s11, v26
	v_add_co_u32_e32 v18, vcc, s10, v16
	v_lshlrev_b32_e32 v8, 4, v8
	v_addc_co_u32_e32 v19, vcc, 0, v49, vcc
	buffer_store_dword v8, off, s[28:31], 0 offset:536 ; 4-byte Folded Spill
	ds_write_b128 v8, v[54:57]
	ds_write_b128 v8, v[4:7] offset:2000
	ds_write_b128 v8, v[58:61] offset:4000
	v_mad_legacy_u16 v4, v74, s11, v75
	v_add_co_u32_e32 v16, vcc, s23, v18
	v_lshlrev_b32_e32 v4, 4, v4
	v_addc_co_u32_e32 v17, vcc, 0, v19, vcc
	buffer_store_dword v4, off, s[28:31], 0 offset:540 ; 4-byte Folded Spill
	ds_write_b128 v4, v[62:65]
	ds_write_b128 v4, v[0:3] offset:2000
	ds_write_b128 v4, v[66:69] offset:4000
	v_add_co_u32_e32 v66, vcc, s22, v18
	v_addc_co_u32_e32 v67, vcc, 0, v19, vcc
	s_waitcnt vmcnt(0) lgkmcnt(0)
	s_barrier
	ds_read_b128 v[20:23], v48
	ds_read_b128 v[24:27], v48 offset:18000
	ds_read_b128 v[28:31], v48 offset:36000
	;; [unrolled: 1-line block ×14, first 2 shown]
	global_load_dwordx4 v[200:203], v[66:67], off offset:1824
	global_load_dwordx4 v[196:199], v[16:17], off offset:16
	s_waitcnt vmcnt(1) lgkmcnt(13)
	v_mul_f64 v[16:17], v[26:27], v[202:203]
	buffer_store_dword v102, off, s[28:31], 0 offset:544 ; 4-byte Folded Spill
	v_fma_f64 v[66:67], v[24:25], v[200:201], -v[16:17]
	v_mul_f64 v[16:17], v[24:25], v[202:203]
	v_fma_f64 v[68:69], v[26:27], v[200:201], v[16:17]
	s_waitcnt vmcnt(1) lgkmcnt(12)
	v_mul_f64 v[16:17], v[30:31], v[198:199]
	v_fma_f64 v[70:71], v[28:29], v[196:197], -v[16:17]
	v_mul_f64 v[16:17], v[28:29], v[198:199]
	v_fma_f64 v[30:31], v[30:31], v[196:197], v[16:17]
	v_add_co_u32_e32 v16, vcc, s24, v100
	v_addc_co_u32_e64 v17, s[24:25], 0, -1, vcc
	s_movk_i32 s24, 0x96
	v_cmp_gt_u16_e32 vcc, s24, v100
	v_cndmask_b32_e32 v17, v17, v81, vcc
	v_cndmask_b32_e32 v16, v16, v79, vcc
	v_lshlrev_b64 v[24:25], 5, v[16:17]
	s_movk_i32 s24, 0x2080
	v_add_co_u32_e32 v17, vcc, s10, v24
	v_addc_co_u32_e32 v27, vcc, v49, v25, vcc
	v_add_co_u32_e32 v24, vcc, s23, v17
	v_addc_co_u32_e32 v25, vcc, 0, v27, vcc
	;; [unrolled: 2-line block ×3, first 2 shown]
	global_load_dwordx4 v[208:211], v[26:27], off offset:1824
	global_load_dwordx4 v[204:207], v[24:25], off offset:16
	v_add_f64 v[28:29], v[68:69], -v[30:31]
	s_waitcnt vmcnt(1) lgkmcnt(10)
	v_mul_f64 v[24:25], v[34:35], v[210:211]
	v_fma_f64 v[72:73], v[32:33], v[208:209], -v[24:25]
	v_mul_f64 v[24:25], v[32:33], v[210:211]
	v_add_f64 v[32:33], v[66:67], -v[70:71]
	v_fma_f64 v[81:82], v[34:35], v[208:209], v[24:25]
	s_waitcnt vmcnt(0) lgkmcnt(9)
	v_mul_f64 v[24:25], v[38:39], v[206:207]
	v_fma_f64 v[83:84], v[36:37], v[204:205], -v[24:25]
	v_mul_f64 v[24:25], v[36:37], v[206:207]
	v_add_f64 v[34:35], v[72:73], v[83:84]
	v_fma_f64 v[38:39], v[38:39], v[204:205], v[24:25]
	v_add_co_u32_e32 v24, vcc, s24, v18
	v_addc_co_u32_e32 v25, vcc, 0, v19, vcc
	v_add_co_u32_e32 v26, vcc, s21, v18
	v_addc_co_u32_e32 v27, vcc, 0, v19, vcc
	global_load_dwordx4 v[216:219], v[26:27], off offset:128
	global_load_dwordx4 v[212:215], v[24:25], off offset:16
	s_movk_i32 s21, 0x5d87
	v_mul_u32_u24_sdwa v17, v76, s21 dst_sel:DWORD dst_unused:UNUSED_PAD src0_sel:WORD_0 src1_sel:DWORD
	v_fma_f64 v[34:35], v[34:35], -0.5, v[12:13]
	v_add_f64 v[36:37], v[81:82], -v[38:39]
	s_waitcnt vmcnt(1) lgkmcnt(7)
	v_mul_f64 v[24:25], v[42:43], v[218:219]
	v_fma_f64 v[85:86], v[40:41], v[216:217], -v[24:25]
	v_mul_f64 v[24:25], v[40:41], v[218:219]
	v_add_f64 v[40:41], v[72:73], -v[83:84]
	v_fma_f64 v[87:88], v[42:43], v[216:217], v[24:25]
	s_waitcnt vmcnt(0) lgkmcnt(6)
	v_mul_f64 v[24:25], v[46:47], v[214:215]
	v_fma_f64 v[89:90], v[44:45], v[212:213], -v[24:25]
	v_mul_f64 v[24:25], v[44:45], v[214:215]
	v_add_f64 v[42:43], v[85:86], v[89:90]
	v_fma_f64 v[46:47], v[46:47], v[212:213], v[24:25]
	v_sub_u16_sdwa v24, v76, v17 dst_sel:DWORD dst_unused:UNUSED_PAD src0_sel:DWORD src1_sel:WORD_1
	v_lshrrev_b16_e32 v24, 1, v24
	v_add_u16_sdwa v17, v24, v17 dst_sel:DWORD dst_unused:UNUSED_PAD src0_sel:DWORD src1_sel:WORD_1
	v_lshrrev_b16_e32 v17, 8, v17
	v_mul_lo_u16_e32 v24, 0x177, v17
	v_sub_u16_e32 v74, v76, v24
	v_lshlrev_b16_e32 v24, 5, v74
	v_add_co_u32_e32 v26, vcc, s10, v24
	v_addc_co_u32_e32 v27, vcc, 0, v49, vcc
	v_add_co_u32_e32 v24, vcc, s23, v26
	v_addc_co_u32_e32 v25, vcc, 0, v27, vcc
	;; [unrolled: 2-line block ×3, first 2 shown]
	global_load_dwordx4 v[228:231], v[26:27], off offset:1824
	global_load_dwordx4 v[220:223], v[24:25], off offset:16
	v_fma_f64 v[42:43], v[42:43], -0.5, v[8:9]
	v_add_f64 v[44:45], v[87:88], -v[46:47]
	s_waitcnt vmcnt(1) lgkmcnt(4)
	v_mul_f64 v[24:25], v[52:53], v[230:231]
	v_fma_f64 v[91:92], v[50:51], v[228:229], -v[24:25]
	v_mul_f64 v[24:25], v[50:51], v[230:231]
	v_add_f64 v[50:51], v[85:86], -v[89:90]
	v_fma_f64 v[93:94], v[52:53], v[228:229], v[24:25]
	s_waitcnt vmcnt(0) lgkmcnt(3)
	v_mul_f64 v[24:25], v[56:57], v[222:223]
	v_fma_f64 v[95:96], v[54:55], v[220:221], -v[24:25]
	v_mul_f64 v[24:25], v[54:55], v[222:223]
	v_add_f64 v[52:53], v[91:92], v[95:96]
	v_fma_f64 v[56:57], v[56:57], v[220:221], v[24:25]
	v_mul_u32_u24_sdwa v24, v77, s21 dst_sel:DWORD dst_unused:UNUSED_PAD src0_sel:WORD_0 src1_sel:DWORD
	v_sub_u16_sdwa v25, v77, v24 dst_sel:DWORD dst_unused:UNUSED_PAD src0_sel:DWORD src1_sel:WORD_1
	v_lshrrev_b16_e32 v25, 1, v25
	v_add_u16_sdwa v24, v25, v24 dst_sel:DWORD dst_unused:UNUSED_PAD src0_sel:DWORD src1_sel:WORD_1
	v_mul_lo_u16_sdwa v24, v24, s11 dst_sel:DWORD dst_unused:UNUSED_PAD src0_sel:BYTE_1 src1_sel:DWORD
	v_sub_u16_e32 v75, v77, v24
	v_lshlrev_b16_e32 v24, 5, v75
	v_add_co_u32_e32 v26, vcc, s10, v24
	v_addc_co_u32_e32 v27, vcc, 0, v49, vcc
	v_add_co_u32_e32 v24, vcc, s23, v26
	v_addc_co_u32_e32 v25, vcc, 0, v27, vcc
	;; [unrolled: 2-line block ×3, first 2 shown]
	global_load_dwordx4 v[244:247], v[26:27], off offset:1824
	global_load_dwordx4 v[240:243], v[24:25], off offset:16
	v_add_f64 v[26:27], v[66:67], v[70:71]
	v_fma_f64 v[52:53], v[52:53], -0.5, v[4:5]
	v_add_f64 v[54:55], v[93:94], -v[56:57]
	s_movk_i32 s11, 0x95
	s_waitcnt vmcnt(0) lgkmcnt(0)
	s_barrier
	v_cmp_lt_u16_e32 vcc, s11, v102
	v_fma_f64 v[26:27], v[26:27], -0.5, v[20:21]
	s_movk_i32 s11, 0x465
	v_mul_f64 v[24:25], v[60:61], v[246:247]
	v_fma_f64 v[97:98], v[58:59], v[244:245], -v[24:25]
	v_mul_f64 v[24:25], v[58:59], v[246:247]
	v_add_f64 v[58:59], v[91:92], -v[95:96]
	v_fma_f64 v[99:100], v[60:61], v[244:245], v[24:25]
	v_mul_f64 v[24:25], v[64:65], v[242:243]
	v_fma_f64 v[224:225], v[62:63], v[240:241], -v[24:25]
	v_mul_f64 v[24:25], v[62:63], v[242:243]
	v_add_f64 v[60:61], v[97:98], v[224:225]
	v_fma_f64 v[64:65], v[64:65], v[240:241], v[24:25]
	v_add_f64 v[24:25], v[20:21], v[66:67]
	v_fma_f64 v[20:21], v[28:29], s[18:19], v[26:27]
	v_fma_f64 v[28:29], v[28:29], s[16:17], v[26:27]
	v_add_f64 v[26:27], v[22:23], v[68:69]
	v_add_f64 v[66:67], v[97:98], -v[224:225]
	v_fma_f64 v[60:61], v[60:61], -0.5, v[0:1]
	v_add_f64 v[62:63], v[99:100], -v[64:65]
	v_add_f64 v[24:25], v[24:25], v[70:71]
	v_add_f64 v[26:27], v[26:27], v[30:31]
	;; [unrolled: 1-line block ×3, first 2 shown]
	v_fma_f64 v[30:31], v[30:31], -0.5, v[22:23]
	v_fma_f64 v[22:23], v[32:33], s[16:17], v[30:31]
	v_fma_f64 v[30:31], v[32:33], s[18:19], v[30:31]
	v_add_f64 v[32:33], v[12:13], v[72:73]
	v_fma_f64 v[12:13], v[36:37], s[18:19], v[34:35]
	v_fma_f64 v[36:37], v[36:37], s[16:17], v[34:35]
	v_add_f64 v[34:35], v[14:15], v[81:82]
	ds_write_b128 v48, v[24:27]
	ds_write_b128 v48, v[20:23] offset:6000
	ds_write_b128 v48, v[28:31] offset:12000
	v_mov_b32_e32 v20, 0x465
	v_cndmask_b32_e32 v20, 0, v20, vcc
	v_add_f64 v[32:33], v[32:33], v[83:84]
	v_add_f64 v[34:35], v[34:35], v[38:39]
	v_add_f64 v[38:39], v[81:82], v[38:39]
	v_fma_f64 v[38:39], v[38:39], -0.5, v[14:15]
	v_fma_f64 v[14:15], v[40:41], s[16:17], v[38:39]
	v_fma_f64 v[38:39], v[40:41], s[18:19], v[38:39]
	v_add_f64 v[40:41], v[8:9], v[85:86]
	v_fma_f64 v[8:9], v[44:45], s[18:19], v[42:43]
	v_fma_f64 v[44:45], v[44:45], s[16:17], v[42:43]
	v_add_f64 v[42:43], v[10:11], v[87:88]
	v_add_f64 v[40:41], v[40:41], v[89:90]
	v_add_f64 v[42:43], v[42:43], v[46:47]
	v_add_f64 v[46:47], v[87:88], v[46:47]
	v_fma_f64 v[46:47], v[46:47], -0.5, v[10:11]
	v_fma_f64 v[10:11], v[50:51], s[16:17], v[46:47]
	v_fma_f64 v[46:47], v[50:51], s[18:19], v[46:47]
	v_add_f64 v[50:51], v[4:5], v[91:92]
	v_fma_f64 v[4:5], v[54:55], s[18:19], v[52:53]
	v_fma_f64 v[54:55], v[54:55], s[16:17], v[52:53]
	v_add_f64 v[52:53], v[6:7], v[93:94]
	;; [unrolled: 10-line block ×3, first 2 shown]
	v_add_lshl_u32 v98, v16, v20, 4
	ds_write_b128 v98, v[32:35]
	ds_write_b128 v98, v[12:15] offset:6000
	ds_write_b128 v98, v[36:39] offset:12000
	;; [unrolled: 1-line block ×5, first 2 shown]
	v_mad_legacy_u16 v8, v17, s11, v74
	s_movk_i32 s11, 0x4600
	v_add_f64 v[58:59], v[58:59], v[224:225]
	v_add_co_u32_e32 v16, vcc, s11, v18
	v_add_f64 v[60:61], v[60:61], v[64:65]
	v_add_f64 v[64:65], v[99:100], v[64:65]
	v_addc_co_u32_e32 v17, vcc, 0, v19, vcc
	v_lshlrev_b32_e32 v8, 4, v8
	v_add_co_u32_e32 v18, vcc, s20, v18
	buffer_store_dword v8, off, s[28:31], 0 offset:548 ; 4-byte Folded Spill
	ds_write_b128 v8, v[50:53]
	ds_write_b128 v8, v[4:7] offset:6000
	ds_write_b128 v8, v[54:57] offset:12000
	v_fma_f64 v[64:65], v[64:65], -0.5, v[2:3]
	v_lshlrev_b32_e32 v4, 4, v75
	v_addc_co_u32_e32 v19, vcc, 0, v19, vcc
	buffer_store_dword v4, off, s[28:31], 0 offset:552 ; 4-byte Folded Spill
	v_fma_f64 v[2:3], v[66:67], s[16:17], v[64:65]
	v_fma_f64 v[64:65], v[66:67], s[18:19], v[64:65]
	ds_write_b128 v4, v[58:61] offset:36000
	ds_write_b128 v4, v[0:3] offset:42000
	;; [unrolled: 1-line block ×3, first 2 shown]
	s_waitcnt vmcnt(0) lgkmcnt(0)
	s_barrier
	ds_read_b128 v[12:15], v48
	ds_read_b128 v[20:23], v48 offset:18000
	ds_read_b128 v[24:27], v48 offset:36000
	;; [unrolled: 1-line block ×14, first 2 shown]
	global_load_dwordx4 v[232:235], v[18:19], off offset:1536
	global_load_dwordx4 v[224:227], v[16:17], off offset:16
	s_waitcnt vmcnt(1) lgkmcnt(13)
	v_mul_f64 v[16:17], v[22:23], v[234:235]
	v_fma_f64 v[66:67], v[20:21], v[232:233], -v[16:17]
	v_mul_f64 v[16:17], v[20:21], v[234:235]
	v_lshlrev_b32_e32 v20, 5, v76
	v_fma_f64 v[22:23], v[22:23], v[232:233], v[16:17]
	s_waitcnt vmcnt(0) lgkmcnt(12)
	v_mul_f64 v[16:17], v[26:27], v[226:227]
	v_fma_f64 v[68:69], v[24:25], v[224:225], -v[16:17]
	v_mul_f64 v[16:17], v[24:25], v[226:227]
	v_fma_f64 v[24:25], v[26:27], v[224:225], v[16:17]
	v_lshlrev_b32_e32 v16, 5, v79
	v_add_co_u32_e32 v18, vcc, s10, v16
	v_addc_co_u32_e32 v19, vcc, 0, v49, vcc
	v_add_co_u32_e32 v16, vcc, s11, v18
	v_addc_co_u32_e32 v17, vcc, 0, v19, vcc
	;; [unrolled: 2-line block ×3, first 2 shown]
	global_load_dwordx4 v[248:251], v[18:19], off offset:1536
	global_load_dwordx4 v[236:239], v[16:17], off offset:16
	s_waitcnt vmcnt(1) lgkmcnt(10)
	v_mul_f64 v[16:17], v[34:35], v[250:251]
	v_fma_f64 v[70:71], v[32:33], v[248:249], -v[16:17]
	v_mul_f64 v[16:17], v[32:33], v[250:251]
	v_fma_f64 v[34:35], v[34:35], v[248:249], v[16:17]
	s_waitcnt vmcnt(0) lgkmcnt(9)
	v_mul_f64 v[16:17], v[38:39], v[238:239]
	v_fma_f64 v[72:73], v[36:37], v[236:237], -v[16:17]
	v_mul_f64 v[16:17], v[36:37], v[238:239]
	v_fma_f64 v[36:37], v[38:39], v[236:237], v[16:17]
	v_lshlrev_b32_e32 v16, 5, v80
	v_add_co_u32_e32 v18, vcc, s10, v16
	v_addc_co_u32_e32 v19, vcc, 0, v49, vcc
	v_add_co_u32_e32 v16, vcc, s11, v18
	v_addc_co_u32_e32 v17, vcc, 0, v19, vcc
	;; [unrolled: 2-line block ×6, first 2 shown]
	global_load_dwordx4 v[116:119], v[18:19], off offset:1536
	global_load_dwordx4 v[252:255], v[16:17], off offset:16
	global_load_dwordx4 v[106:109], v[26:27], off offset:1536
	global_load_dwordx4 v[112:115], v[20:21], off offset:16
	s_waitcnt vmcnt(3) lgkmcnt(7)
	v_mul_f64 v[16:17], v[42:43], v[118:119]
	s_waitcnt vmcnt(1) lgkmcnt(4)
	v_mul_f64 v[26:27], v[50:51], v[108:109]
	v_mul_f64 v[20:21], v[52:53], v[108:109]
	;; [unrolled: 1-line block ×3, first 2 shown]
	v_fma_f64 v[79:80], v[40:41], v[116:117], -v[16:17]
	v_fma_f64 v[52:53], v[52:53], v[106:107], v[26:27]
	s_waitcnt vmcnt(0) lgkmcnt(3)
	v_mul_f64 v[26:27], v[56:57], v[114:115]
	v_fma_f64 v[74:75], v[50:51], v[106:107], -v[20:21]
	v_mul_f64 v[16:17], v[40:41], v[118:119]
	v_fma_f64 v[18:19], v[46:47], v[252:253], v[18:19]
	v_fma_f64 v[20:21], v[54:55], v[112:113], -v[26:27]
	v_mul_f64 v[26:27], v[54:55], v[114:115]
	v_fma_f64 v[42:43], v[42:43], v[116:117], v[16:17]
	v_mul_f64 v[16:17], v[46:47], v[254:255]
	v_fma_f64 v[54:55], v[56:57], v[112:113], v[26:27]
	v_lshlrev_b32_e32 v26, 5, v77
	v_add_co_u32_e32 v32, vcc, s10, v26
	v_addc_co_u32_e32 v33, vcc, 0, v49, vcc
	v_add_co_u32_e32 v26, vcc, s11, v32
	v_addc_co_u32_e32 v27, vcc, 0, v33, vcc
	;; [unrolled: 2-line block ×3, first 2 shown]
	global_load_dwordx4 v[94:97], v[32:33], off offset:1536
	global_load_dwordx4 v[102:105], v[26:27], off offset:16
	v_add_f64 v[32:33], v[22:23], -v[24:25]
	v_fma_f64 v[16:17], v[44:45], v[252:253], -v[16:17]
	v_add_f64 v[38:39], v[42:43], -v[18:19]
	s_mov_b32 s10, 0xd2f0
	s_waitcnt vmcnt(1) lgkmcnt(1)
	v_mul_f64 v[26:27], v[60:61], v[96:97]
	v_fma_f64 v[81:82], v[58:59], v[94:95], -v[26:27]
	v_mul_f64 v[26:27], v[58:59], v[96:97]
	v_fma_f64 v[60:61], v[60:61], v[94:95], v[26:27]
	s_waitcnt vmcnt(0) lgkmcnt(0)
	v_mul_f64 v[26:27], v[64:65], v[104:105]
	v_fma_f64 v[76:77], v[62:63], v[102:103], -v[26:27]
	v_mul_f64 v[26:27], v[62:63], v[104:105]
	v_fma_f64 v[99:100], v[64:65], v[102:103], v[26:27]
	v_add_f64 v[26:27], v[12:13], v[66:67]
	v_add_f64 v[83:84], v[26:27], v[68:69]
	;; [unrolled: 1-line block ×3, first 2 shown]
	v_fma_f64 v[26:27], v[26:27], -0.5, v[12:13]
	v_fma_f64 v[12:13], v[32:33], s[18:19], v[26:27]
	v_fma_f64 v[62:63], v[32:33], s[16:17], v[26:27]
	v_add_f64 v[26:27], v[14:15], v[22:23]
	v_add_f64 v[22:23], v[22:23], v[24:25]
	;; [unrolled: 1-line block ×3, first 2 shown]
	v_fma_f64 v[22:23], v[22:23], -0.5, v[14:15]
	v_add_f64 v[24:25], v[66:67], -v[68:69]
	v_add_f64 v[26:27], v[34:35], -v[36:37]
	v_fma_f64 v[14:15], v[24:25], s[16:17], v[22:23]
	v_fma_f64 v[64:65], v[24:25], s[18:19], v[22:23]
	v_add_f64 v[22:23], v[28:29], v[70:71]
	v_add_f64 v[24:25], v[22:23], v[72:73]
	;; [unrolled: 1-line block ×3, first 2 shown]
	v_fma_f64 v[22:23], v[22:23], -0.5, v[28:29]
	v_fma_f64 v[28:29], v[26:27], s[18:19], v[22:23]
	v_fma_f64 v[32:33], v[26:27], s[16:17], v[22:23]
	v_add_f64 v[22:23], v[30:31], v[34:35]
	v_add_f64 v[26:27], v[22:23], v[36:37]
	;; [unrolled: 1-line block ×3, first 2 shown]
	v_add_f64 v[34:35], v[70:71], -v[72:73]
	v_fma_f64 v[22:23], v[22:23], -0.5, v[30:31]
	v_fma_f64 v[30:31], v[34:35], s[16:17], v[22:23]
	v_fma_f64 v[34:35], v[34:35], s[18:19], v[22:23]
	v_add_f64 v[22:23], v[8:9], v[79:80]
	v_add_f64 v[36:37], v[22:23], v[16:17]
	;; [unrolled: 1-line block ×3, first 2 shown]
	v_add_f64 v[16:17], v[79:80], -v[16:17]
	v_fma_f64 v[22:23], v[22:23], -0.5, v[8:9]
	v_fma_f64 v[8:9], v[38:39], s[18:19], v[22:23]
	v_fma_f64 v[40:41], v[38:39], s[16:17], v[22:23]
	v_add_f64 v[22:23], v[10:11], v[42:43]
	v_add_f64 v[38:39], v[22:23], v[18:19]
	;; [unrolled: 1-line block ×3, first 2 shown]
	v_fma_f64 v[18:19], v[18:19], -0.5, v[10:11]
	v_fma_f64 v[10:11], v[16:17], s[16:17], v[18:19]
	v_fma_f64 v[42:43], v[16:17], s[18:19], v[18:19]
	v_add_f64 v[16:17], v[4:5], v[74:75]
	v_add_f64 v[18:19], v[52:53], -v[54:55]
	v_add_f64 v[44:45], v[16:17], v[20:21]
	v_add_f64 v[16:17], v[74:75], v[20:21]
	v_fma_f64 v[16:17], v[16:17], -0.5, v[4:5]
	v_fma_f64 v[4:5], v[18:19], s[18:19], v[16:17]
	v_fma_f64 v[50:51], v[18:19], s[16:17], v[16:17]
	v_add_f64 v[16:17], v[6:7], v[52:53]
	v_add_f64 v[18:19], v[74:75], -v[20:21]
	v_add_f64 v[46:47], v[16:17], v[54:55]
	v_add_f64 v[16:17], v[52:53], v[54:55]
	;; [unrolled: 7-line block ×4, first 2 shown]
	v_fma_f64 v[16:17], v[16:17], -0.5, v[2:3]
	v_fma_f64 v[2:3], v[18:19], s[16:17], v[16:17]
	v_fma_f64 v[60:61], v[18:19], s[18:19], v[16:17]
	ds_write_b128 v48, v[83:86]
	ds_write_b128 v48, v[12:15] offset:18000
	ds_write_b128 v48, v[62:65] offset:36000
	;; [unrolled: 1-line block ×14, first 2 shown]
	v_add_co_u32_e32 v12, vcc, s10, v101
	v_addc_co_u32_e32 v13, vcc, 0, v78, vcc
	s_mov_b32 s10, 0xd000
	v_add_co_u32_e32 v4, vcc, s10, v101
	v_addc_co_u32_e32 v5, vcc, 0, v78, vcc
	s_waitcnt lgkmcnt(0)
	s_barrier
	global_load_dwordx4 v[4:7], v[4:5], off offset:752
	ds_read_b128 v[0:3], v48
	s_mov_b32 s10, 0xf000
	s_waitcnt vmcnt(0) lgkmcnt(0)
	v_mul_f64 v[8:9], v[2:3], v[6:7]
	v_fma_f64 v[8:9], v[0:1], v[4:5], -v[8:9]
	v_mul_f64 v[0:1], v[0:1], v[6:7]
	v_fma_f64 v[10:11], v[2:3], v[4:5], v[0:1]
	v_add_co_u32_e32 v4, vcc, s10, v101
	v_addc_co_u32_e32 v5, vcc, 0, v78, vcc
	global_load_dwordx4 v[4:7], v[4:5], off offset:3360
	ds_read_b128 v[0:3], v48 offset:10800
	s_mov_b32 s10, 0x12000
	ds_write_b128 v48, v[8:11]
	s_waitcnt vmcnt(0) lgkmcnt(1)
	v_mul_f64 v[8:9], v[2:3], v[6:7]
	v_fma_f64 v[8:9], v[0:1], v[4:5], -v[8:9]
	v_mul_f64 v[0:1], v[0:1], v[6:7]
	v_fma_f64 v[10:11], v[2:3], v[4:5], v[0:1]
	v_add_co_u32_e32 v4, vcc, s10, v101
	v_addc_co_u32_e32 v5, vcc, 0, v78, vcc
	global_load_dwordx4 v[4:7], v[4:5], off offset:1872
	ds_read_b128 v[0:3], v48 offset:21600
	s_mov_b32 s10, 0x15000
	ds_write_b128 v48, v[8:11] offset:10800
	v_add_co_u32_e32 v14, vcc, s10, v101
	v_addc_co_u32_e32 v15, vcc, 0, v78, vcc
	s_mov_b32 s10, 0x17000
	s_waitcnt vmcnt(0) lgkmcnt(1)
	v_mul_f64 v[8:9], v[2:3], v[6:7]
	v_fma_f64 v[8:9], v[0:1], v[4:5], -v[8:9]
	v_mul_f64 v[0:1], v[0:1], v[6:7]
	v_fma_f64 v[10:11], v[2:3], v[4:5], v[0:1]
	global_load_dwordx4 v[4:7], v[14:15], off offset:384
	ds_read_b128 v[0:3], v48 offset:32400
	ds_write_b128 v48, v[8:11] offset:21600
	s_waitcnt vmcnt(0) lgkmcnt(1)
	v_mul_f64 v[8:9], v[2:3], v[6:7]
	v_fma_f64 v[8:9], v[0:1], v[4:5], -v[8:9]
	v_mul_f64 v[0:1], v[0:1], v[6:7]
	v_fma_f64 v[10:11], v[2:3], v[4:5], v[0:1]
	v_add_co_u32_e32 v4, vcc, s10, v101
	v_addc_co_u32_e32 v5, vcc, 0, v78, vcc
	global_load_dwordx4 v[4:7], v[4:5], off offset:2992
	ds_read_b128 v[0:3], v48 offset:43200
	s_mov_b32 s10, 0x10000
	ds_write_b128 v48, v[8:11] offset:32400
	s_waitcnt vmcnt(0) lgkmcnt(1)
	v_mul_f64 v[8:9], v[2:3], v[6:7]
	v_fma_f64 v[8:9], v[0:1], v[4:5], -v[8:9]
	v_mul_f64 v[0:1], v[0:1], v[6:7]
	v_fma_f64 v[10:11], v[2:3], v[4:5], v[0:1]
	global_load_dwordx4 v[4:7], v[12:13], off offset:3600
	ds_read_b128 v[0:3], v48 offset:3600
	ds_write_b128 v48, v[8:11] offset:43200
	s_waitcnt vmcnt(0) lgkmcnt(1)
	v_mul_f64 v[8:9], v[2:3], v[6:7]
	v_fma_f64 v[8:9], v[0:1], v[4:5], -v[8:9]
	v_mul_f64 v[0:1], v[0:1], v[6:7]
	v_fma_f64 v[10:11], v[2:3], v[4:5], v[0:1]
	v_add_co_u32_e32 v4, vcc, s10, v101
	v_addc_co_u32_e32 v5, vcc, 0, v78, vcc
	global_load_dwordx4 v[4:7], v[4:5], off offset:2864
	ds_read_b128 v[0:3], v48 offset:14400
	s_mov_b32 s10, 0x13000
	ds_write_b128 v48, v[8:11] offset:3600
	s_waitcnt vmcnt(0) lgkmcnt(1)
	v_mul_f64 v[8:9], v[2:3], v[6:7]
	v_fma_f64 v[8:9], v[0:1], v[4:5], -v[8:9]
	v_mul_f64 v[0:1], v[0:1], v[6:7]
	v_fma_f64 v[10:11], v[2:3], v[4:5], v[0:1]
	v_add_co_u32_e32 v4, vcc, s10, v101
	v_addc_co_u32_e32 v5, vcc, 0, v78, vcc
	global_load_dwordx4 v[4:7], v[4:5], off offset:1376
	ds_read_b128 v[0:3], v48 offset:25200
	s_mov_b32 s10, 0x18000
	ds_write_b128 v48, v[8:11] offset:14400
	s_waitcnt vmcnt(0) lgkmcnt(1)
	v_mul_f64 v[8:9], v[2:3], v[6:7]
	v_fma_f64 v[8:9], v[0:1], v[4:5], -v[8:9]
	v_mul_f64 v[0:1], v[0:1], v[6:7]
	v_fma_f64 v[10:11], v[2:3], v[4:5], v[0:1]
	global_load_dwordx4 v[4:7], v[14:15], off offset:3984
	ds_read_b128 v[0:3], v48 offset:36000
	ds_write_b128 v48, v[8:11] offset:25200
	s_waitcnt vmcnt(0) lgkmcnt(1)
	v_mul_f64 v[8:9], v[2:3], v[6:7]
	v_fma_f64 v[8:9], v[0:1], v[4:5], -v[8:9]
	v_mul_f64 v[0:1], v[0:1], v[6:7]
	v_fma_f64 v[10:11], v[2:3], v[4:5], v[0:1]
	v_add_co_u32_e32 v4, vcc, s10, v101
	v_addc_co_u32_e32 v5, vcc, 0, v78, vcc
	global_load_dwordx4 v[4:7], v[4:5], off offset:2496
	ds_read_b128 v[0:3], v48 offset:46800
	s_mov_b32 s10, 0xe000
	ds_write_b128 v48, v[8:11] offset:36000
	s_waitcnt vmcnt(0) lgkmcnt(1)
	v_mul_f64 v[8:9], v[2:3], v[6:7]
	v_fma_f64 v[8:9], v[0:1], v[4:5], -v[8:9]
	v_mul_f64 v[0:1], v[0:1], v[6:7]
	v_fma_f64 v[10:11], v[2:3], v[4:5], v[0:1]
	v_add_co_u32_e32 v4, vcc, s10, v101
	v_addc_co_u32_e32 v5, vcc, 0, v78, vcc
	global_load_dwordx4 v[4:7], v[4:5], off offset:3856
	ds_read_b128 v[0:3], v48 offset:7200
	s_mov_b32 s10, 0x11000
	;; [unrolled: 11-line block ×5, first 2 shown]
	ds_write_b128 v48, v[8:11] offset:28800
	s_waitcnt vmcnt(0) lgkmcnt(1)
	v_mul_f64 v[8:9], v[2:3], v[6:7]
	v_fma_f64 v[8:9], v[0:1], v[4:5], -v[8:9]
	v_mul_f64 v[0:1], v[0:1], v[6:7]
	v_fma_f64 v[10:11], v[2:3], v[4:5], v[0:1]
	v_add_co_u32_e32 v4, vcc, s10, v101
	v_addc_co_u32_e32 v5, vcc, 0, v78, vcc
	global_load_dwordx4 v[4:7], v[4:5], off offset:2000
	ds_read_b128 v[0:3], v48 offset:50400
	ds_write_b128 v48, v[8:11] offset:39600
	s_waitcnt vmcnt(0) lgkmcnt(1)
	v_mul_f64 v[8:9], v[2:3], v[6:7]
	v_fma_f64 v[8:9], v[0:1], v[4:5], -v[8:9]
	v_mul_f64 v[0:1], v[0:1], v[6:7]
	v_fma_f64 v[10:11], v[2:3], v[4:5], v[0:1]
	ds_write_b128 v48, v[8:11] offset:50400
	s_waitcnt lgkmcnt(0)
	s_barrier
	ds_read_b128 v[36:39], v48
	ds_read_b128 v[40:43], v48 offset:10800
	ds_read_b128 v[44:47], v48 offset:21600
	;; [unrolled: 1-line block ×14, first 2 shown]
	s_waitcnt lgkmcnt(13)
	v_add_f64 v[61:62], v[36:37], v[40:41]
	s_waitcnt lgkmcnt(10)
	v_add_f64 v[63:64], v[42:43], -v[55:56]
	v_add_f64 v[67:68], v[46:47], -v[51:52]
	;; [unrolled: 1-line block ×4, first 2 shown]
	s_waitcnt lgkmcnt(0)
	s_barrier
	v_add_f64 v[61:62], v[61:62], v[44:45]
	v_add_f64 v[71:72], v[69:70], v[71:72]
	;; [unrolled: 1-line block ×5, first 2 shown]
	v_fma_f64 v[61:62], v[61:62], -0.5, v[36:37]
	v_fma_f64 v[65:66], v[63:64], s[14:15], v[61:62]
	v_fma_f64 v[61:62], v[63:64], s[4:5], v[61:62]
	;; [unrolled: 1-line block ×6, first 2 shown]
	v_add_f64 v[61:62], v[40:41], v[53:54]
	v_add_f64 v[65:66], v[44:45], -v[40:41]
	v_add_f64 v[71:72], v[49:50], -v[53:54]
	;; [unrolled: 1-line block ×4, first 2 shown]
	v_fma_f64 v[36:37], v[61:62], -0.5, v[36:37]
	v_add_f64 v[65:66], v[65:66], v[71:72]
	v_fma_f64 v[61:62], v[67:68], s[4:5], v[36:37]
	v_fma_f64 v[36:37], v[67:68], s[14:15], v[36:37]
	v_fma_f64 v[61:62], v[63:64], s[6:7], v[61:62]
	v_fma_f64 v[36:37], v[63:64], s[8:9], v[36:37]
	v_add_f64 v[63:64], v[55:56], -v[51:52]
	v_fma_f64 v[61:62], v[65:66], s[2:3], v[61:62]
	v_fma_f64 v[65:66], v[65:66], s[2:3], v[36:37]
	v_add_f64 v[36:37], v[38:39], v[42:43]
	v_add_f64 v[36:37], v[36:37], v[46:47]
	;; [unrolled: 1-line block ×5, first 2 shown]
	v_fma_f64 v[36:37], v[36:37], -0.5, v[38:39]
	v_fma_f64 v[53:54], v[40:41], s[4:5], v[36:37]
	v_fma_f64 v[36:37], v[40:41], s[14:15], v[36:37]
	;; [unrolled: 1-line block ×3, first 2 shown]
	v_add_f64 v[53:54], v[42:43], -v[46:47]
	v_fma_f64 v[36:37], v[44:45], s[6:7], v[36:37]
	v_add_f64 v[53:54], v[53:54], v[63:64]
	v_fma_f64 v[79:80], v[53:54], s[2:3], v[36:37]
	v_add_f64 v[36:37], v[42:43], v[55:56]
	v_add_f64 v[42:43], v[46:47], -v[42:43]
	v_add_f64 v[46:47], v[51:52], -v[55:56]
	v_fma_f64 v[71:72], v[53:54], s[2:3], v[49:50]
	v_fma_f64 v[36:37], v[36:37], -0.5, v[38:39]
	v_add_f64 v[42:43], v[42:43], v[46:47]
	v_add_f64 v[46:47], v[8:9], -v[12:13]
	v_fma_f64 v[38:39], v[44:45], s[14:15], v[36:37]
	v_fma_f64 v[36:37], v[44:45], s[4:5], v[36:37]
	v_add_f64 v[44:45], v[4:5], -v[0:1]
	v_fma_f64 v[38:39], v[40:41], s[8:9], v[38:39]
	v_fma_f64 v[36:37], v[40:41], s[6:7], v[36:37]
	v_add_f64 v[46:47], v[44:45], v[46:47]
	v_fma_f64 v[63:64], v[42:43], s[2:3], v[38:39]
	v_fma_f64 v[67:68], v[42:43], s[2:3], v[36:37]
	v_add_f64 v[36:37], v[32:33], v[4:5]
	v_add_f64 v[38:39], v[6:7], -v[10:11]
	v_add_f64 v[42:43], v[2:3], -v[14:15]
	v_add_f64 v[36:37], v[36:37], v[0:1]
	v_add_f64 v[36:37], v[36:37], v[12:13]
	;; [unrolled: 1-line block ×4, first 2 shown]
	v_fma_f64 v[36:37], v[36:37], -0.5, v[32:33]
	v_fma_f64 v[40:41], v[38:39], s[14:15], v[36:37]
	v_fma_f64 v[36:37], v[38:39], s[4:5], v[36:37]
	;; [unrolled: 1-line block ×6, first 2 shown]
	v_add_f64 v[36:37], v[4:5], v[8:9]
	v_add_f64 v[40:41], v[0:1], -v[4:5]
	v_add_f64 v[46:47], v[12:13], -v[8:9]
	;; [unrolled: 1-line block ×5, first 2 shown]
	v_fma_f64 v[32:33], v[36:37], -0.5, v[32:33]
	v_add_f64 v[40:41], v[40:41], v[46:47]
	v_fma_f64 v[36:37], v[42:43], s[4:5], v[32:33]
	v_fma_f64 v[32:33], v[42:43], s[14:15], v[32:33]
	;; [unrolled: 1-line block ×4, first 2 shown]
	v_add_f64 v[38:39], v[10:11], -v[14:15]
	v_fma_f64 v[36:37], v[40:41], s[2:3], v[36:37]
	v_fma_f64 v[40:41], v[40:41], s[2:3], v[32:33]
	v_add_f64 v[32:33], v[34:35], v[6:7]
	v_add_f64 v[12:13], v[12:13], v[38:39]
	;; [unrolled: 1-line block ×6, first 2 shown]
	v_add_f64 v[2:3], v[2:3], -v[6:7]
	v_fma_f64 v[32:33], v[32:33], -0.5, v[34:35]
	v_fma_f64 v[8:9], v[4:5], s[4:5], v[32:33]
	v_fma_f64 v[8:9], v[0:1], s[8:9], v[8:9]
	;; [unrolled: 1-line block ×4, first 2 shown]
	v_add_f64 v[32:33], v[28:29], -v[24:25]
	v_fma_f64 v[8:9], v[0:1], s[6:7], v[8:9]
	v_fma_f64 v[55:56], v[12:13], s[2:3], v[8:9]
	v_add_f64 v[8:9], v[6:7], v[10:11]
	v_add_f64 v[6:7], v[14:15], -v[10:11]
	v_add_f64 v[10:11], v[18:19], -v[30:31]
	;; [unrolled: 1-line block ×3, first 2 shown]
	v_fma_f64 v[8:9], v[8:9], -0.5, v[34:35]
	v_add_f64 v[2:3], v[2:3], v[6:7]
	v_add_f64 v[6:7], v[22:23], -v[26:27]
	v_add_f64 v[14:15], v[14:15], v[32:33]
	v_fma_f64 v[12:13], v[0:1], s[14:15], v[8:9]
	v_fma_f64 v[0:1], v[0:1], s[4:5], v[8:9]
	v_add_f64 v[8:9], v[20:21], -v[16:17]
	v_fma_f64 v[12:13], v[4:5], s[8:9], v[12:13]
	v_fma_f64 v[0:1], v[4:5], s[6:7], v[0:1]
	;; [unrolled: 1-line block ×4, first 2 shown]
	v_add_f64 v[2:3], v[16:17], v[28:29]
	v_add_f64 v[12:13], v[24:25], -v[28:29]
	v_add_f64 v[0:1], v[57:58], v[20:21]
	v_fma_f64 v[2:3], v[2:3], -0.5, v[57:58]
	v_add_f64 v[8:9], v[8:9], v[12:13]
	v_add_f64 v[0:1], v[0:1], v[16:17]
	v_add_f64 v[16:17], v[16:17], -v[28:29]
	v_fma_f64 v[4:5], v[6:7], s[14:15], v[2:3]
	v_fma_f64 v[2:3], v[6:7], s[4:5], v[2:3]
	v_add_f64 v[0:1], v[0:1], v[28:29]
	v_fma_f64 v[4:5], v[10:11], s[6:7], v[4:5]
	v_fma_f64 v[2:3], v[10:11], s[8:9], v[2:3]
	v_add_f64 v[0:1], v[0:1], v[24:25]
	;; [unrolled: 3-line block ×3, first 2 shown]
	v_add_f64 v[20:21], v[20:21], -v[24:25]
	v_add_f64 v[24:25], v[26:27], -v[30:31]
	v_fma_f64 v[2:3], v[2:3], -0.5, v[57:58]
	v_fma_f64 v[12:13], v[10:11], s[4:5], v[2:3]
	v_fma_f64 v[2:3], v[10:11], s[14:15], v[2:3]
	;; [unrolled: 1-line block ×4, first 2 shown]
	v_add_f64 v[6:7], v[18:19], v[30:31]
	v_fma_f64 v[12:13], v[14:15], s[2:3], v[12:13]
	v_fma_f64 v[32:33], v[14:15], s[2:3], v[2:3]
	v_fma_f64 v[10:11], v[6:7], -0.5, v[59:60]
	v_add_f64 v[14:15], v[22:23], -v[18:19]
	v_add_f64 v[2:3], v[59:60], v[22:23]
	v_fma_f64 v[6:7], v[20:21], s[4:5], v[10:11]
	v_fma_f64 v[10:11], v[20:21], s[14:15], v[10:11]
	v_add_f64 v[14:15], v[14:15], v[24:25]
	v_add_f64 v[2:3], v[2:3], v[18:19]
	v_add_f64 v[18:19], v[18:19], -v[22:23]
	v_fma_f64 v[6:7], v[16:17], s[8:9], v[6:7]
	v_fma_f64 v[10:11], v[16:17], s[6:7], v[10:11]
	v_add_f64 v[2:3], v[2:3], v[30:31]
	v_fma_f64 v[6:7], v[14:15], s[2:3], v[6:7]
	v_fma_f64 v[10:11], v[14:15], s[2:3], v[10:11]
	v_add_f64 v[14:15], v[22:23], v[26:27]
	v_add_f64 v[22:23], v[30:31], -v[26:27]
	v_add_f64 v[2:3], v[2:3], v[26:27]
	v_fma_f64 v[24:25], v[14:15], -0.5, v[59:60]
	v_add_f64 v[18:19], v[18:19], v[22:23]
	v_fma_f64 v[14:15], v[16:17], s[14:15], v[24:25]
	v_fma_f64 v[16:17], v[16:17], s[4:5], v[24:25]
	;; [unrolled: 1-line block ×6, first 2 shown]
	buffer_load_dword v16, off, s[28:31], 0 offset:384 ; 4-byte Folded Reload
	s_waitcnt vmcnt(0)
	ds_write_b128 v16, v[73:76]
	ds_write_b128 v16, v[69:72] offset:16
	ds_write_b128 v16, v[61:64] offset:32
	ds_write_b128 v16, v[65:68] offset:48
	ds_write_b128 v16, v[77:80] offset:64
	buffer_load_dword v16, off, s[28:31], 0 offset:316 ; 4-byte Folded Reload
	s_waitcnt vmcnt(0)
	ds_write_b128 v16, v[49:52]
	ds_write_b128 v16, v[44:47] offset:16
	ds_write_b128 v16, v[36:39] offset:32
	ds_write_b128 v16, v[40:43] offset:48
	ds_write_b128 v16, v[53:56] offset:64
	;; [unrolled: 7-line block ×3, first 2 shown]
	s_waitcnt lgkmcnt(0)
	s_barrier
	ds_read_b128 v[2:5], v48
	ds_read_b128 v[6:9], v48 offset:10800
	ds_read_b128 v[10:13], v48 offset:21600
	;; [unrolled: 1-line block ×14, first 2 shown]
	buffer_load_dword v68, off, s[28:31], 0 offset:300 ; 4-byte Folded Reload
	buffer_load_dword v69, off, s[28:31], 0 offset:304 ; 4-byte Folded Reload
	buffer_load_dword v70, off, s[28:31], 0 offset:308 ; 4-byte Folded Reload
	buffer_load_dword v71, off, s[28:31], 0 offset:312 ; 4-byte Folded Reload
	s_waitcnt vmcnt(0) lgkmcnt(13)
	v_mul_f64 v[0:1], v[70:71], v[8:9]
	v_fma_f64 v[18:19], v[68:69], v[6:7], v[0:1]
	v_mul_f64 v[0:1], v[70:71], v[6:7]
	v_fma_f64 v[6:7], v[68:69], v[8:9], -v[0:1]
	buffer_load_dword v68, off, s[28:31], 0 offset:284 ; 4-byte Folded Reload
	buffer_load_dword v69, off, s[28:31], 0 offset:288 ; 4-byte Folded Reload
	buffer_load_dword v70, off, s[28:31], 0 offset:292 ; 4-byte Folded Reload
	buffer_load_dword v71, off, s[28:31], 0 offset:296 ; 4-byte Folded Reload
	s_waitcnt vmcnt(0) lgkmcnt(12)
	v_mul_f64 v[0:1], v[70:71], v[12:13]
	v_fma_f64 v[8:9], v[68:69], v[10:11], v[0:1]
	v_mul_f64 v[0:1], v[70:71], v[10:11]
	v_fma_f64 v[10:11], v[68:69], v[12:13], -v[0:1]
	;; [unrolled: 9-line block ×7, first 2 shown]
	buffer_load_dword v28, off, s[28:31], 0 offset:320 ; 4-byte Folded Reload
	buffer_load_dword v29, off, s[28:31], 0 offset:324 ; 4-byte Folded Reload
	;; [unrolled: 1-line block ×4, first 2 shown]
	v_add_f64 v[38:39], v[10:11], -v[16:17]
	s_waitcnt vmcnt(0) lgkmcnt(5)
	v_mul_f64 v[0:1], v[30:31], v[42:43]
	v_fma_f64 v[78:79], v[28:29], v[40:41], v[0:1]
	v_mul_f64 v[0:1], v[30:31], v[40:41]
	v_add_f64 v[40:41], v[18:19], -v[8:9]
	v_fma_f64 v[80:81], v[28:29], v[42:43], -v[0:1]
	buffer_load_dword v28, off, s[28:31], 0 offset:472 ; 4-byte Folded Reload
	buffer_load_dword v29, off, s[28:31], 0 offset:476 ; 4-byte Folded Reload
	;; [unrolled: 1-line block ×4, first 2 shown]
	v_add_f64 v[42:43], v[14:15], -v[49:50]
	v_add_f64 v[40:41], v[40:41], v[42:43]
	s_waitcnt vmcnt(0) lgkmcnt(3)
	v_mul_f64 v[0:1], v[30:31], v[46:47]
	v_fma_f64 v[82:83], v[28:29], v[44:45], v[0:1]
	v_mul_f64 v[0:1], v[30:31], v[44:45]
	v_fma_f64 v[84:85], v[28:29], v[46:47], -v[0:1]
	buffer_load_dword v28, off, s[28:31], 0 offset:488 ; 4-byte Folded Reload
	buffer_load_dword v29, off, s[28:31], 0 offset:492 ; 4-byte Folded Reload
	;; [unrolled: 1-line block ×8, first 2 shown]
	s_waitcnt vmcnt(4) lgkmcnt(2)
	v_mul_f64 v[0:1], v[30:31], v[58:59]
	s_waitcnt vmcnt(0) lgkmcnt(1)
	v_mul_f64 v[12:13], v[34:35], v[60:61]
	v_fma_f64 v[99:100], v[28:29], v[56:57], v[0:1]
	v_mul_f64 v[0:1], v[30:31], v[56:57]
	v_fma_f64 v[12:13], v[32:33], v[62:63], -v[12:13]
	v_fma_f64 v[110:111], v[28:29], v[58:59], -v[0:1]
	v_mul_f64 v[0:1], v[34:35], v[62:63]
	v_fma_f64 v[30:31], v[32:33], v[60:61], v[0:1]
	buffer_load_dword v32, off, s[28:31], 0 offset:440 ; 4-byte Folded Reload
	buffer_load_dword v33, off, s[28:31], 0 offset:444 ; 4-byte Folded Reload
	;; [unrolled: 1-line block ×4, first 2 shown]
	s_waitcnt vmcnt(0) lgkmcnt(0)
	s_barrier
	v_mul_f64 v[28:29], v[34:35], v[66:67]
	v_fma_f64 v[0:1], v[32:33], v[64:65], v[28:29]
	v_mul_f64 v[28:29], v[34:35], v[64:65]
	v_add_f64 v[34:35], v[6:7], -v[24:25]
	v_fma_f64 v[28:29], v[32:33], v[66:67], -v[28:29]
	v_add_f64 v[32:33], v[2:3], v[18:19]
	v_add_f64 v[32:33], v[32:33], v[8:9]
	;; [unrolled: 1-line block ×5, first 2 shown]
	v_fma_f64 v[32:33], v[32:33], -0.5, v[2:3]
	v_fma_f64 v[36:37], v[34:35], s[14:15], v[32:33]
	v_fma_f64 v[32:33], v[34:35], s[4:5], v[32:33]
	v_fma_f64 v[36:37], v[38:39], s[6:7], v[36:37]
	v_fma_f64 v[32:33], v[38:39], s[8:9], v[32:33]
	v_fma_f64 v[64:65], v[40:41], s[2:3], v[36:37]
	v_fma_f64 v[86:87], v[40:41], s[2:3], v[32:33]
	v_add_f64 v[32:33], v[18:19], v[14:15]
	v_add_f64 v[36:37], v[8:9], -v[18:19]
	v_add_f64 v[40:41], v[49:50], -v[14:15]
	v_add_f64 v[14:15], v[18:19], -v[14:15]
	v_add_f64 v[8:9], v[8:9], -v[49:50]
	v_fma_f64 v[2:3], v[32:33], -0.5, v[2:3]
	v_add_f64 v[40:41], v[36:37], v[40:41]
	v_fma_f64 v[32:33], v[38:39], s[4:5], v[2:3]
	v_fma_f64 v[2:3], v[38:39], s[14:15], v[2:3]
	v_add_f64 v[38:39], v[24:25], -v[16:17]
	v_fma_f64 v[32:33], v[34:35], s[6:7], v[32:33]
	v_fma_f64 v[2:3], v[34:35], s[8:9], v[2:3]
	v_add_f64 v[34:35], v[6:7], -v[10:11]
	v_fma_f64 v[36:37], v[40:41], s[2:3], v[32:33]
	v_fma_f64 v[32:33], v[40:41], s[2:3], v[2:3]
	v_add_f64 v[2:3], v[4:5], v[6:7]
	v_add_f64 v[34:35], v[34:35], v[38:39]
	;; [unrolled: 1-line block ×6, first 2 shown]
	v_fma_f64 v[2:3], v[2:3], -0.5, v[4:5]
	v_fma_f64 v[18:19], v[14:15], s[4:5], v[2:3]
	v_fma_f64 v[2:3], v[14:15], s[14:15], v[2:3]
	v_fma_f64 v[18:19], v[8:9], s[8:9], v[18:19]
	v_fma_f64 v[2:3], v[8:9], s[6:7], v[2:3]
	v_fma_f64 v[66:67], v[34:35], s[2:3], v[18:19]
	v_fma_f64 v[88:89], v[34:35], s[2:3], v[2:3]
	v_add_f64 v[2:3], v[6:7], v[24:25]
	v_add_f64 v[6:7], v[10:11], -v[6:7]
	v_add_f64 v[10:11], v[16:17], -v[24:25]
	;; [unrolled: 1-line block ×4, first 2 shown]
	v_fma_f64 v[2:3], v[2:3], -0.5, v[4:5]
	v_add_f64 v[6:7], v[6:7], v[10:11]
	v_add_f64 v[10:11], v[26:27], -v[70:71]
	v_fma_f64 v[4:5], v[8:9], s[14:15], v[2:3]
	v_fma_f64 v[2:3], v[8:9], s[4:5], v[2:3]
	v_add_f64 v[8:9], v[72:73], -v[76:77]
	v_fma_f64 v[4:5], v[14:15], s[8:9], v[4:5]
	v_fma_f64 v[2:3], v[14:15], s[6:7], v[2:3]
	;; [unrolled: 3-line block ×3, first 2 shown]
	v_add_f64 v[2:3], v[52:53], v[26:27]
	v_add_f64 v[4:5], v[68:69], -v[80:81]
	v_add_f64 v[10:11], v[10:11], v[14:15]
	v_add_f64 v[14:15], v[74:75], -v[78:79]
	v_add_f64 v[2:3], v[2:3], v[70:71]
	v_add_f64 v[2:3], v[2:3], v[74:75]
	;; [unrolled: 1-line block ×4, first 2 shown]
	v_fma_f64 v[2:3], v[2:3], -0.5, v[52:53]
	v_fma_f64 v[6:7], v[4:5], s[14:15], v[2:3]
	v_fma_f64 v[2:3], v[4:5], s[4:5], v[2:3]
	;; [unrolled: 1-line block ×6, first 2 shown]
	v_add_f64 v[2:3], v[26:27], v[78:79]
	v_add_f64 v[10:11], v[70:71], -v[26:27]
	v_fma_f64 v[2:3], v[2:3], -0.5, v[52:53]
	v_add_f64 v[10:11], v[10:11], v[14:15]
	v_add_f64 v[14:15], v[80:81], -v[76:77]
	v_fma_f64 v[6:7], v[8:9], s[4:5], v[2:3]
	v_fma_f64 v[2:3], v[8:9], s[14:15], v[2:3]
	v_add_f64 v[8:9], v[70:71], -v[74:75]
	v_fma_f64 v[6:7], v[4:5], s[6:7], v[6:7]
	v_fma_f64 v[2:3], v[4:5], s[8:9], v[2:3]
	v_add_f64 v[4:5], v[26:27], -v[78:79]
	v_add_f64 v[26:27], v[28:29], -v[12:13]
	v_fma_f64 v[56:57], v[10:11], s[2:3], v[6:7]
	v_fma_f64 v[52:53], v[10:11], s[2:3], v[2:3]
	v_add_f64 v[2:3], v[54:55], v[68:69]
	v_add_f64 v[10:11], v[68:69], -v[72:73]
	v_add_f64 v[2:3], v[2:3], v[72:73]
	v_add_f64 v[10:11], v[10:11], v[14:15]
	v_add_f64 v[14:15], v[76:77], -v[80:81]
	v_add_f64 v[2:3], v[2:3], v[76:77]
	v_add_f64 v[46:47], v[2:3], v[80:81]
	;; [unrolled: 1-line block ×3, first 2 shown]
	v_fma_f64 v[2:3], v[2:3], -0.5, v[54:55]
	v_fma_f64 v[6:7], v[4:5], s[4:5], v[2:3]
	v_fma_f64 v[2:3], v[4:5], s[14:15], v[2:3]
	;; [unrolled: 1-line block ×6, first 2 shown]
	v_add_f64 v[2:3], v[68:69], v[80:81]
	v_add_f64 v[10:11], v[72:73], -v[68:69]
	v_fma_f64 v[2:3], v[2:3], -0.5, v[54:55]
	v_add_f64 v[10:11], v[10:11], v[14:15]
	v_add_f64 v[14:15], v[82:83], -v[99:100]
	v_fma_f64 v[6:7], v[8:9], s[14:15], v[2:3]
	v_fma_f64 v[2:3], v[8:9], s[4:5], v[2:3]
	v_add_f64 v[14:15], v[14:15], v[16:17]
	v_fma_f64 v[6:7], v[4:5], s[8:9], v[6:7]
	v_fma_f64 v[2:3], v[4:5], s[6:7], v[2:3]
	;; [unrolled: 1-line block ×4, first 2 shown]
	v_add_f64 v[2:3], v[20:21], v[82:83]
	v_add_f64 v[6:7], v[84:85], -v[28:29]
	v_add_f64 v[10:11], v[110:111], -v[12:13]
	v_add_f64 v[2:3], v[2:3], v[99:100]
	v_add_f64 v[2:3], v[2:3], v[30:31]
	;; [unrolled: 1-line block ×4, first 2 shown]
	v_fma_f64 v[2:3], v[2:3], -0.5, v[20:21]
	v_fma_f64 v[4:5], v[6:7], s[14:15], v[2:3]
	v_fma_f64 v[2:3], v[6:7], s[4:5], v[2:3]
	v_fma_f64 v[4:5], v[10:11], s[6:7], v[4:5]
	v_fma_f64 v[2:3], v[10:11], s[8:9], v[2:3]
	v_fma_f64 v[16:17], v[14:15], s[2:3], v[4:5]
	v_fma_f64 v[4:5], v[14:15], s[2:3], v[2:3]
	v_add_f64 v[2:3], v[82:83], v[0:1]
	v_fma_f64 v[2:3], v[2:3], -0.5, v[20:21]
	v_add_f64 v[20:21], v[30:31], -v[0:1]
	v_add_f64 v[0:1], v[82:83], -v[0:1]
	v_fma_f64 v[14:15], v[10:11], s[4:5], v[2:3]
	v_fma_f64 v[2:3], v[10:11], s[14:15], v[2:3]
	v_add_f64 v[18:19], v[18:19], v[20:21]
	v_fma_f64 v[14:15], v[6:7], s[6:7], v[14:15]
	v_fma_f64 v[2:3], v[6:7], s[8:9], v[2:3]
	;; [unrolled: 1-line block ×4, first 2 shown]
	v_add_f64 v[2:3], v[22:23], v[84:85]
	v_add_f64 v[14:15], v[99:100], -v[30:31]
	v_add_f64 v[18:19], v[84:85], -v[110:111]
	v_add_f64 v[2:3], v[2:3], v[110:111]
	v_add_f64 v[26:27], v[18:19], v[26:27]
	;; [unrolled: 1-line block ×5, first 2 shown]
	v_add_f64 v[12:13], v[12:13], -v[28:29]
	v_fma_f64 v[2:3], v[2:3], -0.5, v[22:23]
	v_fma_f64 v[6:7], v[0:1], s[4:5], v[2:3]
	v_fma_f64 v[2:3], v[0:1], s[14:15], v[2:3]
	;; [unrolled: 1-line block ×6, first 2 shown]
	v_add_f64 v[2:3], v[84:85], v[28:29]
	v_add_f64 v[26:27], v[110:111], -v[84:85]
	v_fma_f64 v[2:3], v[2:3], -0.5, v[22:23]
	v_add_f64 v[12:13], v[26:27], v[12:13]
	v_fma_f64 v[22:23], v[14:15], s[14:15], v[2:3]
	v_fma_f64 v[2:3], v[14:15], s[4:5], v[2:3]
	;; [unrolled: 1-line block ×6, first 2 shown]
	buffer_load_dword v0, off, s[28:31], 0 offset:508 ; 4-byte Folded Reload
	s_waitcnt vmcnt(0)
	ds_write_b128 v0, v[90:93]
	ds_write_b128 v0, v[64:67] offset:80
	ds_write_b128 v0, v[36:39] offset:160
	ds_write_b128 v0, v[32:35] offset:240
	ds_write_b128 v0, v[86:89] offset:320
	buffer_load_dword v0, off, s[28:31], 0 offset:504 ; 4-byte Folded Reload
	s_waitcnt vmcnt(0)
	ds_write_b128 v0, v[44:47]
	ds_write_b128 v0, v[60:63] offset:80
	ds_write_b128 v0, v[56:59] offset:160
	ds_write_b128 v0, v[52:55] offset:240
	ds_write_b128 v0, v[40:43] offset:320
	;; [unrolled: 7-line block ×3, first 2 shown]
	s_waitcnt lgkmcnt(0)
	s_barrier
	ds_read_b128 v[12:15], v48
	ds_read_b128 v[0:3], v48 offset:10800
	ds_read_b128 v[4:7], v48 offset:21600
	;; [unrolled: 1-line block ×14, first 2 shown]
	buffer_load_dword v68, off, s[28:31], 0 offset:424 ; 4-byte Folded Reload
	buffer_load_dword v69, off, s[28:31], 0 offset:428 ; 4-byte Folded Reload
	buffer_load_dword v70, off, s[28:31], 0 offset:432 ; 4-byte Folded Reload
	buffer_load_dword v71, off, s[28:31], 0 offset:436 ; 4-byte Folded Reload
	s_waitcnt lgkmcnt(13)
	v_mul_f64 v[57:58], v[122:123], v[2:3]
	v_fma_f64 v[57:58], v[120:121], v[0:1], v[57:58]
	v_mul_f64 v[0:1], v[122:123], v[0:1]
	v_fma_f64 v[64:65], v[120:121], v[2:3], -v[0:1]
	s_waitcnt vmcnt(0) lgkmcnt(12)
	v_mul_f64 v[0:1], v[70:71], v[6:7]
	v_fma_f64 v[66:67], v[68:69], v[4:5], v[0:1]
	v_mul_f64 v[0:1], v[70:71], v[4:5]
	buffer_load_dword v2, off, s[28:31], 0 offset:408 ; 4-byte Folded Reload
	buffer_load_dword v3, off, s[28:31], 0 offset:412 ; 4-byte Folded Reload
	;; [unrolled: 1-line block ×4, first 2 shown]
	v_fma_f64 v[68:69], v[68:69], v[6:7], -v[0:1]
	s_waitcnt vmcnt(0) lgkmcnt(11)
	v_mul_f64 v[0:1], v[4:5], v[10:11]
	v_fma_f64 v[6:7], v[2:3], v[8:9], v[0:1]
	v_mul_f64 v[0:1], v[4:5], v[8:9]
	v_add_f64 v[8:9], v[57:58], -v[66:67]
	v_fma_f64 v[70:71], v[2:3], v[10:11], -v[0:1]
	buffer_load_dword v2, off, s[28:31], 0 offset:392 ; 4-byte Folded Reload
	buffer_load_dword v3, off, s[28:31], 0 offset:396 ; 4-byte Folded Reload
	;; [unrolled: 1-line block ×4, first 2 shown]
	s_waitcnt vmcnt(0) lgkmcnt(0)
	s_barrier
	v_mul_f64 v[0:1], v[4:5], v[18:19]
	v_fma_f64 v[10:11], v[2:3], v[16:17], v[0:1]
	v_mul_f64 v[0:1], v[4:5], v[16:17]
	v_add_f64 v[16:17], v[10:11], -v[6:7]
	v_fma_f64 v[18:19], v[2:3], v[18:19], -v[0:1]
	v_mul_f64 v[0:1], v[138:139], v[26:27]
	v_add_f64 v[2:3], v[66:67], v[6:7]
	v_add_f64 v[16:17], v[8:9], v[16:17]
	v_fma_f64 v[72:73], v[136:137], v[24:25], v[0:1]
	v_mul_f64 v[0:1], v[138:139], v[24:25]
	v_fma_f64 v[2:3], v[2:3], -0.5, v[12:13]
	v_fma_f64 v[74:75], v[136:137], v[26:27], -v[0:1]
	v_mul_f64 v[0:1], v[134:135], v[30:31]
	v_fma_f64 v[76:77], v[132:133], v[28:29], v[0:1]
	v_mul_f64 v[0:1], v[134:135], v[28:29]
	v_fma_f64 v[78:79], v[132:133], v[30:31], -v[0:1]
	v_mul_f64 v[0:1], v[130:131], v[34:35]
	v_fma_f64 v[80:81], v[128:129], v[32:33], v[0:1]
	v_mul_f64 v[0:1], v[130:131], v[32:33]
	v_fma_f64 v[82:83], v[128:129], v[34:35], -v[0:1]
	v_mul_f64 v[0:1], v[126:127], v[38:39]
	v_fma_f64 v[84:85], v[124:125], v[36:37], v[0:1]
	v_mul_f64 v[0:1], v[126:127], v[36:37]
	v_fma_f64 v[86:87], v[124:125], v[38:39], -v[0:1]
	v_mul_f64 v[0:1], v[154:155], v[42:43]
	v_fma_f64 v[32:33], v[152:153], v[40:41], v[0:1]
	v_mul_f64 v[0:1], v[154:155], v[40:41]
	v_add_f64 v[40:41], v[64:65], -v[18:19]
	v_fma_f64 v[24:25], v[152:153], v[42:43], -v[0:1]
	v_mul_f64 v[0:1], v[150:151], v[46:47]
	v_fma_f64 v[4:5], v[40:41], s[14:15], v[2:3]
	v_add_f64 v[42:43], v[68:69], -v[70:71]
	v_fma_f64 v[2:3], v[40:41], s[4:5], v[2:3]
	v_fma_f64 v[34:35], v[148:149], v[44:45], v[0:1]
	v_mul_f64 v[0:1], v[150:151], v[44:45]
	v_fma_f64 v[4:5], v[42:43], s[6:7], v[4:5]
	v_fma_f64 v[2:3], v[42:43], s[8:9], v[2:3]
	v_add_f64 v[44:45], v[6:7], -v[10:11]
	v_fma_f64 v[26:27], v[148:149], v[46:47], -v[0:1]
	v_mul_f64 v[0:1], v[146:147], v[51:52]
	v_fma_f64 v[8:9], v[16:17], s[2:3], v[4:5]
	v_fma_f64 v[4:5], v[16:17], s[2:3], v[2:3]
	v_add_f64 v[2:3], v[57:58], v[10:11]
	v_add_f64 v[16:17], v[66:67], -v[57:58]
	v_add_f64 v[46:47], v[18:19], -v[70:71]
	v_fma_f64 v[36:37], v[144:145], v[49:50], v[0:1]
	v_mul_f64 v[0:1], v[146:147], v[49:50]
	v_add_f64 v[49:50], v[72:73], -v[76:77]
	v_fma_f64 v[2:3], v[2:3], -0.5, v[12:13]
	v_add_f64 v[44:45], v[16:17], v[44:45]
	v_fma_f64 v[28:29], v[144:145], v[51:52], -v[0:1]
	v_mul_f64 v[0:1], v[142:143], v[55:56]
	v_add_f64 v[51:52], v[78:79], -v[82:83]
	v_fma_f64 v[38:39], v[140:141], v[53:54], v[0:1]
	v_mul_f64 v[0:1], v[142:143], v[53:54]
	v_add_f64 v[53:54], v[84:85], -v[80:81]
	v_fma_f64 v[30:31], v[140:141], v[55:56], -v[0:1]
	v_add_f64 v[0:1], v[12:13], v[57:58]
	v_fma_f64 v[12:13], v[42:43], s[4:5], v[2:3]
	v_fma_f64 v[2:3], v[42:43], s[14:15], v[2:3]
	v_add_f64 v[42:43], v[57:58], -v[10:11]
	v_add_f64 v[49:50], v[49:50], v[53:54]
	v_add_f64 v[53:54], v[76:77], -v[72:73]
	v_add_f64 v[55:56], v[80:81], -v[84:85]
	v_add_f64 v[57:58], v[76:77], -v[80:81]
	v_add_f64 v[0:1], v[0:1], v[66:67]
	v_fma_f64 v[12:13], v[40:41], s[6:7], v[12:13]
	v_fma_f64 v[2:3], v[40:41], s[8:9], v[2:3]
	v_add_f64 v[40:41], v[68:69], v[70:71]
	v_add_f64 v[53:54], v[53:54], v[55:56]
	v_add_f64 v[55:56], v[72:73], -v[84:85]
	v_add_f64 v[0:1], v[0:1], v[6:7]
	v_fma_f64 v[16:17], v[44:45], s[2:3], v[12:13]
	v_fma_f64 v[12:13], v[44:45], s[2:3], v[2:3]
	v_fma_f64 v[40:41], v[40:41], -0.5, v[14:15]
	v_add_f64 v[44:45], v[66:67], -v[6:7]
	v_add_f64 v[2:3], v[14:15], v[64:65]
	v_add_f64 v[66:67], v[86:87], -v[82:83]
	v_add_f64 v[0:1], v[0:1], v[10:11]
	v_fma_f64 v[10:11], v[42:43], s[4:5], v[40:41]
	v_add_f64 v[2:3], v[2:3], v[68:69]
	v_fma_f64 v[6:7], v[44:45], s[8:9], v[10:11]
	v_add_f64 v[10:11], v[64:65], -v[68:69]
	v_add_f64 v[2:3], v[2:3], v[70:71]
	v_add_f64 v[46:47], v[10:11], v[46:47]
	;; [unrolled: 1-line block ×3, first 2 shown]
	v_fma_f64 v[10:11], v[46:47], s[2:3], v[6:7]
	v_fma_f64 v[6:7], v[42:43], s[14:15], v[40:41]
	v_add_f64 v[40:41], v[64:65], v[18:19]
	v_add_f64 v[18:19], v[70:71], -v[18:19]
	v_add_f64 v[70:71], v[24:25], -v[30:31]
	v_fma_f64 v[6:7], v[44:45], s[6:7], v[6:7]
	v_fma_f64 v[14:15], v[40:41], -0.5, v[14:15]
	v_fma_f64 v[6:7], v[46:47], s[2:3], v[6:7]
	v_fma_f64 v[40:41], v[44:45], s[14:15], v[14:15]
	v_add_f64 v[46:47], v[68:69], -v[64:65]
	v_fma_f64 v[14:15], v[44:45], s[4:5], v[14:15]
	v_add_f64 v[64:65], v[74:75], -v[78:79]
	v_add_f64 v[68:69], v[82:83], -v[86:87]
	v_fma_f64 v[40:41], v[42:43], s[8:9], v[40:41]
	v_add_f64 v[46:47], v[46:47], v[18:19]
	v_fma_f64 v[14:15], v[42:43], s[6:7], v[14:15]
	v_add_f64 v[42:43], v[76:77], v[80:81]
	v_add_f64 v[64:65], v[64:65], v[66:67]
	v_add_f64 v[66:67], v[78:79], -v[74:75]
	v_fma_f64 v[18:19], v[46:47], s[2:3], v[40:41]
	v_fma_f64 v[14:15], v[46:47], s[2:3], v[14:15]
	v_fma_f64 v[42:43], v[42:43], -0.5, v[20:21]
	v_add_f64 v[46:47], v[74:75], -v[86:87]
	v_add_f64 v[40:41], v[20:21], v[72:73]
	v_add_f64 v[66:67], v[66:67], v[68:69]
	v_add_f64 v[68:69], v[32:33], -v[34:35]
	v_fma_f64 v[44:45], v[46:47], s[14:15], v[42:43]
	v_fma_f64 v[42:43], v[46:47], s[4:5], v[42:43]
	v_add_f64 v[40:41], v[40:41], v[76:77]
	v_add_f64 v[76:77], v[36:37], -v[38:39]
	v_fma_f64 v[44:45], v[51:52], s[6:7], v[44:45]
	v_fma_f64 v[42:43], v[51:52], s[8:9], v[42:43]
	v_add_f64 v[40:41], v[40:41], v[80:81]
	v_fma_f64 v[44:45], v[49:50], s[2:3], v[44:45]
	v_fma_f64 v[49:50], v[49:50], s[2:3], v[42:43]
	v_add_f64 v[42:43], v[72:73], v[84:85]
	v_add_f64 v[72:73], v[38:39], -v[36:37]
	v_add_f64 v[40:41], v[40:41], v[84:85]
	v_fma_f64 v[42:43], v[42:43], -0.5, v[20:21]
	v_add_f64 v[68:69], v[68:69], v[72:73]
	v_add_f64 v[72:73], v[34:35], -v[32:33]
	v_fma_f64 v[20:21], v[51:52], s[4:5], v[42:43]
	v_fma_f64 v[42:43], v[51:52], s[14:15], v[42:43]
	v_add_f64 v[76:77], v[72:73], v[76:77]
	v_fma_f64 v[20:21], v[46:47], s[6:7], v[20:21]
	v_fma_f64 v[42:43], v[46:47], s[8:9], v[42:43]
	v_add_f64 v[46:47], v[78:79], v[82:83]
	v_fma_f64 v[20:21], v[53:54], s[2:3], v[20:21]
	v_fma_f64 v[53:54], v[53:54], s[2:3], v[42:43]
	v_fma_f64 v[51:52], v[46:47], -0.5, v[22:23]
	v_add_f64 v[42:43], v[22:23], v[74:75]
	v_fma_f64 v[46:47], v[55:56], s[4:5], v[51:52]
	v_fma_f64 v[51:52], v[55:56], s[14:15], v[51:52]
	v_add_f64 v[42:43], v[42:43], v[78:79]
	v_fma_f64 v[46:47], v[57:58], s[8:9], v[46:47]
	v_fma_f64 v[51:52], v[57:58], s[6:7], v[51:52]
	;; [unrolled: 3-line block ×3, first 2 shown]
	v_add_f64 v[64:65], v[74:75], v[86:87]
	v_add_f64 v[74:75], v[26:27], -v[28:29]
	v_add_f64 v[42:43], v[42:43], v[86:87]
	v_fma_f64 v[64:65], v[64:65], -0.5, v[22:23]
	v_fma_f64 v[22:23], v[57:58], s[14:15], v[64:65]
	v_fma_f64 v[57:58], v[57:58], s[4:5], v[64:65]
	v_add_f64 v[64:65], v[34:35], v[36:37]
	v_fma_f64 v[22:23], v[55:56], s[8:9], v[22:23]
	v_fma_f64 v[55:56], v[55:56], s[6:7], v[57:58]
	v_add_f64 v[57:58], v[60:61], v[32:33]
	v_fma_f64 v[22:23], v[66:67], s[2:3], v[22:23]
	v_fma_f64 v[55:56], v[66:67], s[2:3], v[55:56]
	v_fma_f64 v[66:67], v[64:65], -0.5, v[60:61]
	v_add_f64 v[57:58], v[57:58], v[34:35]
	v_add_f64 v[34:35], v[34:35], -v[36:37]
	v_fma_f64 v[64:65], v[70:71], s[14:15], v[66:67]
	v_fma_f64 v[66:67], v[70:71], s[4:5], v[66:67]
	v_add_f64 v[57:58], v[57:58], v[36:37]
	v_fma_f64 v[64:65], v[74:75], s[6:7], v[64:65]
	v_fma_f64 v[66:67], v[74:75], s[8:9], v[66:67]
	v_add_f64 v[57:58], v[57:58], v[38:39]
	;; [unrolled: 3-line block ×3, first 2 shown]
	v_add_f64 v[32:33], v[32:33], -v[38:39]
	v_fma_f64 v[59:60], v[66:67], -0.5, v[60:61]
	v_fma_f64 v[66:67], v[74:75], s[4:5], v[59:60]
	v_fma_f64 v[59:60], v[74:75], s[14:15], v[59:60]
	v_fma_f64 v[66:67], v[70:71], s[6:7], v[66:67]
	v_fma_f64 v[59:60], v[70:71], s[8:9], v[59:60]
	v_fma_f64 v[72:73], v[76:77], s[2:3], v[66:67]
	v_add_f64 v[66:67], v[26:27], v[28:29]
	v_fma_f64 v[76:77], v[76:77], s[2:3], v[59:60]
	v_add_f64 v[59:60], v[62:63], v[24:25]
	v_fma_f64 v[70:71], v[66:67], -0.5, v[62:63]
	v_add_f64 v[66:67], v[30:31], -v[28:29]
	v_add_f64 v[59:60], v[59:60], v[26:27]
	v_fma_f64 v[38:39], v[32:33], s[4:5], v[70:71]
	v_add_f64 v[59:60], v[59:60], v[28:29]
	v_fma_f64 v[36:37], v[34:35], s[8:9], v[38:39]
	v_add_f64 v[38:39], v[24:25], -v[26:27]
	v_add_f64 v[59:60], v[59:60], v[30:31]
	v_add_f64 v[38:39], v[38:39], v[66:67]
	v_fma_f64 v[66:67], v[38:39], s[2:3], v[36:37]
	v_fma_f64 v[36:37], v[32:33], s[14:15], v[70:71]
	;; [unrolled: 1-line block ×4, first 2 shown]
	v_add_f64 v[36:37], v[24:25], v[30:31]
	v_add_f64 v[24:25], v[26:27], -v[24:25]
	v_add_f64 v[26:27], v[28:29], -v[30:31]
	v_fma_f64 v[36:37], v[36:37], -0.5, v[62:63]
	v_add_f64 v[24:25], v[24:25], v[26:27]
	v_fma_f64 v[38:39], v[34:35], s[14:15], v[36:37]
	v_fma_f64 v[26:27], v[34:35], s[4:5], v[36:37]
	;; [unrolled: 1-line block ×6, first 2 shown]
	buffer_load_dword v24, off, s[28:31], 0 offset:512 ; 4-byte Folded Reload
	s_waitcnt vmcnt(0)
	ds_write_b128 v24, v[0:3]
	ds_write_b128 v24, v[8:11] offset:400
	ds_write_b128 v24, v[16:19] offset:800
	ds_write_b128 v24, v[12:15] offset:1200
	ds_write_b128 v24, v[4:7] offset:1600
	buffer_load_dword v0, off, s[28:31], 0 offset:516 ; 4-byte Folded Reload
	s_waitcnt vmcnt(0)
	ds_write_b128 v0, v[40:43]
	ds_write_b128 v0, v[44:47] offset:400
	ds_write_b128 v0, v[20:23] offset:800
	ds_write_b128 v0, v[53:56] offset:1200
	ds_write_b128 v0, v[49:52] offset:1600
	;; [unrolled: 7-line block ×3, first 2 shown]
	s_waitcnt lgkmcnt(0)
	s_barrier
	ds_read_b128 v[4:7], v48
	ds_read_b128 v[8:11], v48 offset:18000
	ds_read_b128 v[12:15], v48 offset:36000
	;; [unrolled: 1-line block ×14, first 2 shown]
	s_waitcnt lgkmcnt(13)
	v_mul_f64 v[61:62], v[162:163], v[10:11]
	s_waitcnt lgkmcnt(0)
	s_barrier
	s_mov_b32 s2, 0xe70b7421
	s_mov_b32 s3, 0x3f336b06
	v_fma_f64 v[61:62], v[160:161], v[8:9], v[61:62]
	v_mul_f64 v[8:9], v[162:163], v[8:9]
	v_fma_f64 v[63:64], v[160:161], v[10:11], -v[8:9]
	v_mul_f64 v[8:9], v[158:159], v[14:15]
	v_fma_f64 v[65:66], v[156:157], v[12:13], v[8:9]
	v_mul_f64 v[8:9], v[158:159], v[12:13]
	v_add_f64 v[10:11], v[61:62], v[65:66]
	v_fma_f64 v[14:15], v[156:157], v[14:15], -v[8:9]
	v_mul_f64 v[8:9], v[170:171], v[22:23]
	v_fma_f64 v[10:11], v[10:11], -0.5, v[4:5]
	v_add_f64 v[12:13], v[63:64], -v[14:15]
	v_fma_f64 v[67:68], v[168:169], v[20:21], v[8:9]
	v_mul_f64 v[8:9], v[170:171], v[20:21]
	v_add_f64 v[20:21], v[61:62], -v[65:66]
	v_fma_f64 v[69:70], v[168:169], v[22:23], -v[8:9]
	v_mul_f64 v[8:9], v[166:167], v[26:27]
	v_fma_f64 v[71:72], v[164:165], v[24:25], v[8:9]
	v_mul_f64 v[8:9], v[166:167], v[24:25]
	v_add_f64 v[22:23], v[67:68], v[71:72]
	v_fma_f64 v[26:27], v[164:165], v[26:27], -v[8:9]
	v_mul_f64 v[8:9], v[178:179], v[34:35]
	v_fma_f64 v[22:23], v[22:23], -0.5, v[16:17]
	v_add_f64 v[24:25], v[69:70], -v[26:27]
	v_fma_f64 v[73:74], v[176:177], v[32:33], v[8:9]
	v_mul_f64 v[8:9], v[178:179], v[32:33]
	v_add_f64 v[32:33], v[67:68], -v[71:72]
	v_fma_f64 v[75:76], v[176:177], v[34:35], -v[8:9]
	v_mul_f64 v[8:9], v[174:175], v[38:39]
	v_fma_f64 v[77:78], v[172:173], v[36:37], v[8:9]
	v_mul_f64 v[8:9], v[174:175], v[36:37]
	v_add_f64 v[34:35], v[73:74], v[77:78]
	v_fma_f64 v[38:39], v[172:173], v[38:39], -v[8:9]
	v_mul_f64 v[8:9], v[186:187], v[46:47]
	v_fma_f64 v[34:35], v[34:35], -0.5, v[28:29]
	v_add_f64 v[36:37], v[75:76], -v[38:39]
	v_fma_f64 v[79:80], v[184:185], v[44:45], v[8:9]
	v_mul_f64 v[8:9], v[186:187], v[44:45]
	v_add_f64 v[44:45], v[73:74], -v[77:78]
	v_fma_f64 v[81:82], v[184:185], v[46:47], -v[8:9]
	v_mul_f64 v[8:9], v[182:183], v[51:52]
	v_fma_f64 v[83:84], v[180:181], v[49:50], v[8:9]
	v_mul_f64 v[8:9], v[182:183], v[49:50]
	v_add_f64 v[46:47], v[79:80], v[83:84]
	v_fma_f64 v[51:52], v[180:181], v[51:52], -v[8:9]
	v_mul_f64 v[8:9], v[194:195], v[55:56]
	v_fma_f64 v[46:47], v[46:47], -0.5, v[40:41]
	v_add_f64 v[49:50], v[81:82], -v[51:52]
	v_fma_f64 v[85:86], v[192:193], v[53:54], v[8:9]
	v_mul_f64 v[8:9], v[194:195], v[53:54]
	v_add_f64 v[53:54], v[79:80], -v[83:84]
	v_fma_f64 v[87:88], v[192:193], v[55:56], -v[8:9]
	v_mul_f64 v[8:9], v[190:191], v[59:60]
	v_fma_f64 v[89:90], v[188:189], v[57:58], v[8:9]
	v_mul_f64 v[8:9], v[190:191], v[57:58]
	v_add_f64 v[55:56], v[85:86], v[89:90]
	v_fma_f64 v[59:60], v[188:189], v[59:60], -v[8:9]
	v_add_f64 v[8:9], v[4:5], v[61:62]
	v_fma_f64 v[4:5], v[12:13], s[16:17], v[10:11]
	v_fma_f64 v[12:13], v[12:13], s[18:19], v[10:11]
	v_add_f64 v[10:11], v[6:7], v[63:64]
	v_add_f64 v[61:62], v[85:86], -v[89:90]
	v_fma_f64 v[55:56], v[55:56], -0.5, v[0:1]
	v_add_f64 v[57:58], v[87:88], -v[59:60]
	v_add_f64 v[8:9], v[8:9], v[65:66]
	v_add_f64 v[10:11], v[10:11], v[14:15]
	v_add_f64 v[14:15], v[63:64], v[14:15]
	v_fma_f64 v[14:15], v[14:15], -0.5, v[6:7]
	v_fma_f64 v[6:7], v[20:21], s[18:19], v[14:15]
	v_fma_f64 v[14:15], v[20:21], s[16:17], v[14:15]
	v_add_f64 v[20:21], v[16:17], v[67:68]
	v_fma_f64 v[16:17], v[24:25], s[16:17], v[22:23]
	v_fma_f64 v[24:25], v[24:25], s[18:19], v[22:23]
	v_add_f64 v[22:23], v[18:19], v[69:70]
	v_add_f64 v[20:21], v[20:21], v[71:72]
	v_add_f64 v[22:23], v[22:23], v[26:27]
	v_add_f64 v[26:27], v[69:70], v[26:27]
	v_fma_f64 v[26:27], v[26:27], -0.5, v[18:19]
	v_fma_f64 v[18:19], v[32:33], s[18:19], v[26:27]
	v_fma_f64 v[26:27], v[32:33], s[16:17], v[26:27]
	v_add_f64 v[32:33], v[28:29], v[73:74]
	v_fma_f64 v[28:29], v[36:37], s[16:17], v[34:35]
	v_fma_f64 v[36:37], v[36:37], s[18:19], v[34:35]
	v_add_f64 v[34:35], v[30:31], v[75:76]
	;; [unrolled: 10-line block ×4, first 2 shown]
	v_add_f64 v[53:54], v[53:54], v[89:90]
	v_add_f64 v[55:56], v[55:56], v[59:60]
	;; [unrolled: 1-line block ×3, first 2 shown]
	v_fma_f64 v[59:60], v[59:60], -0.5, v[2:3]
	v_fma_f64 v[2:3], v[61:62], s[18:19], v[59:60]
	v_fma_f64 v[59:60], v[61:62], s[16:17], v[59:60]
	buffer_load_dword v61, off, s[28:31], 0 offset:524 ; 4-byte Folded Reload
	s_waitcnt vmcnt(0)
	ds_write_b128 v61, v[8:11]
	ds_write_b128 v61, v[4:7] offset:2000
	ds_write_b128 v61, v[12:15] offset:4000
	buffer_load_dword v4, off, s[28:31], 0 offset:528 ; 4-byte Folded Reload
	s_waitcnt vmcnt(0)
	ds_write_b128 v4, v[20:23]
	ds_write_b128 v4, v[16:19] offset:2000
	ds_write_b128 v4, v[24:27] offset:4000
	;; [unrolled: 5-line block ×5, first 2 shown]
	s_waitcnt lgkmcnt(0)
	s_barrier
	ds_read_b128 v[0:3], v48
	ds_read_b128 v[4:7], v48 offset:18000
	ds_read_b128 v[8:11], v48 offset:36000
	;; [unrolled: 1-line block ×14, first 2 shown]
	s_waitcnt lgkmcnt(13)
	v_mul_f64 v[61:62], v[202:203], v[6:7]
	s_waitcnt lgkmcnt(0)
	s_barrier
	v_fma_f64 v[61:62], v[200:201], v[4:5], v[61:62]
	v_mul_f64 v[4:5], v[202:203], v[4:5]
	v_fma_f64 v[63:64], v[200:201], v[6:7], -v[4:5]
	v_mul_f64 v[4:5], v[198:199], v[10:11]
	v_fma_f64 v[65:66], v[196:197], v[8:9], v[4:5]
	v_mul_f64 v[4:5], v[198:199], v[8:9]
	v_add_f64 v[6:7], v[61:62], v[65:66]
	v_fma_f64 v[10:11], v[196:197], v[10:11], -v[4:5]
	v_mul_f64 v[4:5], v[210:211], v[18:19]
	v_fma_f64 v[6:7], v[6:7], -0.5, v[0:1]
	v_add_f64 v[8:9], v[63:64], -v[10:11]
	v_fma_f64 v[67:68], v[208:209], v[16:17], v[4:5]
	v_mul_f64 v[4:5], v[210:211], v[16:17]
	v_add_f64 v[16:17], v[61:62], -v[65:66]
	v_fma_f64 v[69:70], v[208:209], v[18:19], -v[4:5]
	v_mul_f64 v[4:5], v[206:207], v[22:23]
	v_fma_f64 v[71:72], v[204:205], v[20:21], v[4:5]
	v_mul_f64 v[4:5], v[206:207], v[20:21]
	v_add_f64 v[18:19], v[67:68], v[71:72]
	v_fma_f64 v[22:23], v[204:205], v[22:23], -v[4:5]
	v_mul_f64 v[4:5], v[218:219], v[30:31]
	v_fma_f64 v[18:19], v[18:19], -0.5, v[12:13]
	v_add_f64 v[20:21], v[69:70], -v[22:23]
	v_fma_f64 v[73:74], v[216:217], v[28:29], v[4:5]
	v_mul_f64 v[4:5], v[218:219], v[28:29]
	v_add_f64 v[28:29], v[67:68], -v[71:72]
	;; [unrolled: 12-line block ×4, first 2 shown]
	v_fma_f64 v[87:88], v[244:245], v[55:56], -v[4:5]
	v_mul_f64 v[4:5], v[242:243], v[59:60]
	v_fma_f64 v[89:90], v[240:241], v[57:58], v[4:5]
	v_mul_f64 v[4:5], v[242:243], v[57:58]
	v_add_f64 v[55:56], v[85:86], v[89:90]
	v_fma_f64 v[59:60], v[240:241], v[59:60], -v[4:5]
	v_add_f64 v[4:5], v[0:1], v[61:62]
	v_fma_f64 v[0:1], v[8:9], s[16:17], v[6:7]
	v_fma_f64 v[8:9], v[8:9], s[18:19], v[6:7]
	v_add_f64 v[6:7], v[2:3], v[63:64]
	v_add_f64 v[61:62], v[85:86], -v[89:90]
	v_fma_f64 v[55:56], v[55:56], -0.5, v[49:50]
	v_add_f64 v[57:58], v[87:88], -v[59:60]
	v_add_f64 v[4:5], v[4:5], v[65:66]
	v_add_f64 v[6:7], v[6:7], v[10:11]
	;; [unrolled: 1-line block ×3, first 2 shown]
	v_fma_f64 v[10:11], v[10:11], -0.5, v[2:3]
	v_fma_f64 v[2:3], v[16:17], s[18:19], v[10:11]
	v_fma_f64 v[10:11], v[16:17], s[16:17], v[10:11]
	v_add_f64 v[16:17], v[12:13], v[67:68]
	v_fma_f64 v[12:13], v[20:21], s[16:17], v[18:19]
	v_fma_f64 v[20:21], v[20:21], s[18:19], v[18:19]
	v_add_f64 v[18:19], v[14:15], v[69:70]
	v_add_f64 v[16:17], v[16:17], v[71:72]
	;; [unrolled: 1-line block ×4, first 2 shown]
	v_fma_f64 v[22:23], v[22:23], -0.5, v[14:15]
	v_fma_f64 v[14:15], v[28:29], s[18:19], v[22:23]
	v_fma_f64 v[22:23], v[28:29], s[16:17], v[22:23]
	v_add_f64 v[28:29], v[24:25], v[73:74]
	v_fma_f64 v[24:25], v[32:33], s[16:17], v[30:31]
	v_fma_f64 v[32:33], v[32:33], s[18:19], v[30:31]
	v_add_f64 v[30:31], v[26:27], v[75:76]
	v_add_f64 v[28:29], v[28:29], v[77:78]
	;; [unrolled: 1-line block ×4, first 2 shown]
	v_fma_f64 v[34:35], v[34:35], -0.5, v[26:27]
	v_fma_f64 v[26:27], v[40:41], s[18:19], v[34:35]
	v_fma_f64 v[34:35], v[40:41], s[16:17], v[34:35]
	ds_write_b128 v48, v[4:7]
	ds_write_b128 v48, v[0:3] offset:6000
	ds_write_b128 v48, v[8:11] offset:12000
	ds_write_b128 v98, v[16:19]
	ds_write_b128 v98, v[12:15] offset:6000
	ds_write_b128 v98, v[20:23] offset:12000
	;; [unrolled: 1-line block ×5, first 2 shown]
	buffer_load_dword v0, off, s[28:31], 0 offset:548 ; 4-byte Folded Reload
	v_add_f64 v[40:41], v[36:37], v[79:80]
	v_fma_f64 v[36:37], v[44:45], s[16:17], v[42:43]
	v_fma_f64 v[44:45], v[44:45], s[18:19], v[42:43]
	v_add_f64 v[42:43], v[38:39], v[81:82]
	v_add_f64 v[40:41], v[40:41], v[83:84]
	;; [unrolled: 1-line block ×4, first 2 shown]
	v_fma_f64 v[46:47], v[46:47], -0.5, v[38:39]
	v_fma_f64 v[38:39], v[53:54], s[18:19], v[46:47]
	v_fma_f64 v[46:47], v[53:54], s[16:17], v[46:47]
	s_waitcnt vmcnt(0)
	ds_write_b128 v0, v[40:43]
	ds_write_b128 v0, v[36:39] offset:6000
	ds_write_b128 v0, v[44:47] offset:12000
	buffer_load_dword v0, off, s[28:31], 0 offset:552 ; 4-byte Folded Reload
	v_add_f64 v[53:54], v[49:50], v[85:86]
	v_fma_f64 v[49:50], v[57:58], s[16:17], v[55:56]
	v_fma_f64 v[57:58], v[57:58], s[18:19], v[55:56]
	v_add_f64 v[55:56], v[51:52], v[87:88]
	v_add_f64 v[53:54], v[53:54], v[89:90]
	v_add_f64 v[55:56], v[55:56], v[59:60]
	v_add_f64 v[59:60], v[87:88], v[59:60]
	v_fma_f64 v[59:60], v[59:60], -0.5, v[51:52]
	v_fma_f64 v[51:52], v[61:62], s[18:19], v[59:60]
	v_fma_f64 v[59:60], v[61:62], s[16:17], v[59:60]
	s_waitcnt vmcnt(0)
	ds_write_b128 v0, v[53:56] offset:36000
	ds_write_b128 v0, v[49:52] offset:42000
	;; [unrolled: 1-line block ×3, first 2 shown]
	s_waitcnt lgkmcnt(0)
	s_barrier
	ds_read_b128 v[0:3], v48
	ds_read_b128 v[4:7], v48 offset:18000
	ds_read_b128 v[8:11], v48 offset:36000
	;; [unrolled: 1-line block ×14, first 2 shown]
	s_waitcnt lgkmcnt(13)
	v_mul_f64 v[61:62], v[234:235], v[6:7]
	v_fma_f64 v[61:62], v[232:233], v[4:5], v[61:62]
	v_mul_f64 v[4:5], v[234:235], v[4:5]
	v_fma_f64 v[63:64], v[232:233], v[6:7], -v[4:5]
	s_waitcnt lgkmcnt(12)
	v_mul_f64 v[4:5], v[226:227], v[10:11]
	v_fma_f64 v[65:66], v[224:225], v[8:9], v[4:5]
	v_mul_f64 v[4:5], v[226:227], v[8:9]
	v_add_f64 v[6:7], v[61:62], v[65:66]
	v_fma_f64 v[10:11], v[224:225], v[10:11], -v[4:5]
	s_waitcnt lgkmcnt(10)
	v_mul_f64 v[4:5], v[250:251], v[18:19]
	v_fma_f64 v[6:7], v[6:7], -0.5, v[0:1]
	v_add_f64 v[8:9], v[63:64], -v[10:11]
	v_fma_f64 v[67:68], v[248:249], v[16:17], v[4:5]
	v_mul_f64 v[4:5], v[250:251], v[16:17]
	v_add_f64 v[16:17], v[61:62], -v[65:66]
	v_fma_f64 v[69:70], v[248:249], v[18:19], -v[4:5]
	s_waitcnt lgkmcnt(9)
	v_mul_f64 v[4:5], v[238:239], v[22:23]
	v_fma_f64 v[71:72], v[236:237], v[20:21], v[4:5]
	v_mul_f64 v[4:5], v[238:239], v[20:21]
	v_add_f64 v[18:19], v[67:68], v[71:72]
	v_fma_f64 v[22:23], v[236:237], v[22:23], -v[4:5]
	s_waitcnt lgkmcnt(7)
	v_mul_f64 v[4:5], v[118:119], v[30:31]
	v_fma_f64 v[18:19], v[18:19], -0.5, v[12:13]
	v_add_f64 v[20:21], v[69:70], -v[22:23]
	v_fma_f64 v[73:74], v[116:117], v[28:29], v[4:5]
	v_mul_f64 v[4:5], v[118:119], v[28:29]
	v_add_f64 v[28:29], v[67:68], -v[71:72]
	;; [unrolled: 14-line block ×4, first 2 shown]
	v_fma_f64 v[87:88], v[94:95], v[55:56], -v[4:5]
	s_waitcnt lgkmcnt(0)
	v_mul_f64 v[4:5], v[104:105], v[59:60]
	v_fma_f64 v[89:90], v[102:103], v[57:58], v[4:5]
	v_mul_f64 v[4:5], v[104:105], v[57:58]
	v_add_f64 v[55:56], v[85:86], v[89:90]
	v_fma_f64 v[59:60], v[102:103], v[59:60], -v[4:5]
	v_add_f64 v[4:5], v[0:1], v[61:62]
	v_fma_f64 v[0:1], v[8:9], s[16:17], v[6:7]
	v_fma_f64 v[8:9], v[8:9], s[18:19], v[6:7]
	v_add_f64 v[6:7], v[2:3], v[63:64]
	v_add_f64 v[61:62], v[85:86], -v[89:90]
	v_fma_f64 v[55:56], v[55:56], -0.5, v[49:50]
	v_add_f64 v[57:58], v[87:88], -v[59:60]
	v_add_f64 v[4:5], v[4:5], v[65:66]
	v_add_f64 v[6:7], v[6:7], v[10:11]
	v_add_f64 v[10:11], v[63:64], v[10:11]
	v_fma_f64 v[10:11], v[10:11], -0.5, v[2:3]
	v_fma_f64 v[2:3], v[16:17], s[18:19], v[10:11]
	v_fma_f64 v[10:11], v[16:17], s[16:17], v[10:11]
	v_add_f64 v[16:17], v[12:13], v[67:68]
	v_fma_f64 v[12:13], v[20:21], s[16:17], v[18:19]
	v_fma_f64 v[20:21], v[20:21], s[18:19], v[18:19]
	v_add_f64 v[18:19], v[14:15], v[69:70]
	v_add_f64 v[16:17], v[16:17], v[71:72]
	v_add_f64 v[18:19], v[18:19], v[22:23]
	v_add_f64 v[22:23], v[69:70], v[22:23]
	v_fma_f64 v[22:23], v[22:23], -0.5, v[14:15]
	v_fma_f64 v[14:15], v[28:29], s[18:19], v[22:23]
	v_fma_f64 v[22:23], v[28:29], s[16:17], v[22:23]
	v_add_f64 v[28:29], v[24:25], v[73:74]
	v_fma_f64 v[24:25], v[32:33], s[16:17], v[30:31]
	v_fma_f64 v[32:33], v[32:33], s[18:19], v[30:31]
	v_add_f64 v[30:31], v[26:27], v[75:76]
	;; [unrolled: 10-line block ×4, first 2 shown]
	v_add_f64 v[53:54], v[53:54], v[89:90]
	v_add_f64 v[55:56], v[55:56], v[59:60]
	v_add_f64 v[59:60], v[87:88], v[59:60]
	v_fma_f64 v[59:60], v[59:60], -0.5, v[51:52]
	v_fma_f64 v[51:52], v[61:62], s[18:19], v[59:60]
	v_fma_f64 v[59:60], v[61:62], s[16:17], v[59:60]
	ds_write_b128 v48, v[4:7]
	ds_write_b128 v48, v[0:3] offset:18000
	ds_write_b128 v48, v[8:11] offset:36000
	;; [unrolled: 1-line block ×14, first 2 shown]
	s_waitcnt lgkmcnt(0)
	s_barrier
	ds_read_b128 v[0:3], v48
	buffer_load_dword v6, off, s[28:31], 0 offset:24 ; 4-byte Folded Reload
	buffer_load_dword v7, off, s[28:31], 0 offset:28 ; 4-byte Folded Reload
	;; [unrolled: 1-line block ×4, first 2 shown]
	s_waitcnt vmcnt(0) lgkmcnt(0)
	v_mul_f64 v[4:5], v[8:9], v[2:3]
	v_fma_f64 v[4:5], v[6:7], v[0:1], v[4:5]
	v_mul_f64 v[0:1], v[8:9], v[0:1]
	v_mov_b32_e32 v8, s13
	v_mul_f64 v[4:5], v[4:5], s[2:3]
	v_fma_f64 v[0:1], v[6:7], v[2:3], -v[0:1]
	buffer_load_dword v2, off, s[28:31], 0 offset:544 ; 4-byte Folded Reload
	v_mul_f64 v[6:7], v[0:1], s[2:3]
	s_waitcnt vmcnt(0)
	v_mad_u64_u32 v[0:1], s[4:5], s0, v2, 0
	v_mad_u64_u32 v[1:2], s[4:5], s1, v2, v[1:2]
	buffer_load_dword v2, off, s[28:31], 0  ; 4-byte Folded Reload
	buffer_load_dword v3, off, s[28:31], 0 offset:4 ; 4-byte Folded Reload
	s_mul_i32 s4, s1, 0x2a30
	v_lshlrev_b64 v[0:1], 4, v[0:1]
	s_mul_hi_u32 s5, s0, 0x2a30
	s_add_i32 s4, s5, s4
	s_mul_i32 s5, s0, 0x2a30
	s_mul_i32 s1, s1, 0xffff6550
	s_waitcnt vmcnt(0)
	v_lshlrev_b64 v[2:3], 4, v[2:3]
	v_add_co_u32_e32 v2, vcc, s12, v2
	v_addc_co_u32_e32 v3, vcc, v8, v3, vcc
	v_add_co_u32_e32 v8, vcc, v2, v0
	v_addc_co_u32_e32 v9, vcc, v3, v1, vcc
	global_store_dwordx4 v[8:9], v[4:7], off
	ds_read_b128 v[0:3], v48 offset:10800
	buffer_load_dword v10, off, s[28:31], 0 offset:40 ; 4-byte Folded Reload
	buffer_load_dword v11, off, s[28:31], 0 offset:44 ; 4-byte Folded Reload
	buffer_load_dword v12, off, s[28:31], 0 offset:48 ; 4-byte Folded Reload
	buffer_load_dword v13, off, s[28:31], 0 offset:52 ; 4-byte Folded Reload
	v_add_co_u32_e32 v8, vcc, s5, v8
	s_waitcnt vmcnt(0) lgkmcnt(0)
	v_mul_f64 v[4:5], v[12:13], v[2:3]
	v_fma_f64 v[4:5], v[10:11], v[0:1], v[4:5]
	v_mul_f64 v[0:1], v[12:13], v[0:1]
	v_mul_f64 v[4:5], v[4:5], s[2:3]
	v_fma_f64 v[0:1], v[10:11], v[2:3], -v[0:1]
	v_mul_f64 v[6:7], v[0:1], s[2:3]
	v_mov_b32_e32 v0, s4
	v_addc_co_u32_e32 v9, vcc, v9, v0, vcc
	ds_read_b128 v[0:3], v48 offset:21600
	global_store_dwordx4 v[8:9], v[4:7], off
	buffer_load_dword v10, off, s[28:31], 0 offset:56 ; 4-byte Folded Reload
	buffer_load_dword v11, off, s[28:31], 0 offset:60 ; 4-byte Folded Reload
	buffer_load_dword v12, off, s[28:31], 0 offset:64 ; 4-byte Folded Reload
	buffer_load_dword v13, off, s[28:31], 0 offset:68 ; 4-byte Folded Reload
	v_add_co_u32_e32 v8, vcc, s5, v8
	s_waitcnt vmcnt(0) lgkmcnt(0)
	v_mul_f64 v[4:5], v[12:13], v[2:3]
	v_fma_f64 v[4:5], v[10:11], v[0:1], v[4:5]
	v_mul_f64 v[0:1], v[12:13], v[0:1]
	v_mul_f64 v[4:5], v[4:5], s[2:3]
	v_fma_f64 v[0:1], v[10:11], v[2:3], -v[0:1]
	v_mul_f64 v[6:7], v[0:1], s[2:3]
	v_mov_b32_e32 v0, s4
	v_addc_co_u32_e32 v9, vcc, v9, v0, vcc
	ds_read_b128 v[0:3], v48 offset:32400
	global_store_dwordx4 v[8:9], v[4:7], off
	;; [unrolled: 16-line block ×4, first 2 shown]
	buffer_load_dword v10, off, s[28:31], 0 offset:104 ; 4-byte Folded Reload
	buffer_load_dword v11, off, s[28:31], 0 offset:108 ; 4-byte Folded Reload
	buffer_load_dword v12, off, s[28:31], 0 offset:112 ; 4-byte Folded Reload
	buffer_load_dword v13, off, s[28:31], 0 offset:116 ; 4-byte Folded Reload
	s_waitcnt vmcnt(0) lgkmcnt(0)
	v_mul_f64 v[4:5], v[12:13], v[2:3]
	v_fma_f64 v[4:5], v[10:11], v[0:1], v[4:5]
	v_mul_f64 v[0:1], v[12:13], v[0:1]
	v_mul_f64 v[4:5], v[4:5], s[2:3]
	v_fma_f64 v[0:1], v[10:11], v[2:3], -v[0:1]
	v_mov_b32_e32 v10, 0xffff6550
	v_mad_u64_u32 v[8:9], s[6:7], s0, v10, v[8:9]
	s_sub_i32 s6, s1, s0
	v_add_u32_e32 v9, s6, v9
	v_mul_f64 v[6:7], v[0:1], s[2:3]
	ds_read_b128 v[0:3], v48 offset:14400
	global_store_dwordx4 v[8:9], v[4:7], off
	buffer_load_dword v11, off, s[28:31], 0 offset:120 ; 4-byte Folded Reload
	buffer_load_dword v12, off, s[28:31], 0 offset:124 ; 4-byte Folded Reload
	buffer_load_dword v13, off, s[28:31], 0 offset:128 ; 4-byte Folded Reload
	buffer_load_dword v14, off, s[28:31], 0 offset:132 ; 4-byte Folded Reload
	v_add_co_u32_e32 v8, vcc, s5, v8
	s_waitcnt vmcnt(0) lgkmcnt(0)
	v_mul_f64 v[4:5], v[13:14], v[2:3]
	v_fma_f64 v[4:5], v[11:12], v[0:1], v[4:5]
	v_mul_f64 v[0:1], v[13:14], v[0:1]
	v_mul_f64 v[4:5], v[4:5], s[2:3]
	v_fma_f64 v[0:1], v[11:12], v[2:3], -v[0:1]
	v_mul_f64 v[6:7], v[0:1], s[2:3]
	v_mov_b32_e32 v0, s4
	v_addc_co_u32_e32 v9, vcc, v9, v0, vcc
	ds_read_b128 v[0:3], v48 offset:25200
	global_store_dwordx4 v[8:9], v[4:7], off
	buffer_load_dword v11, off, s[28:31], 0 offset:136 ; 4-byte Folded Reload
	buffer_load_dword v12, off, s[28:31], 0 offset:140 ; 4-byte Folded Reload
	buffer_load_dword v13, off, s[28:31], 0 offset:144 ; 4-byte Folded Reload
	buffer_load_dword v14, off, s[28:31], 0 offset:148 ; 4-byte Folded Reload
	v_add_co_u32_e32 v8, vcc, s5, v8
	s_waitcnt vmcnt(0) lgkmcnt(0)
	v_mul_f64 v[4:5], v[13:14], v[2:3]
	v_fma_f64 v[4:5], v[11:12], v[0:1], v[4:5]
	v_mul_f64 v[0:1], v[13:14], v[0:1]
	v_mul_f64 v[4:5], v[4:5], s[2:3]
	v_fma_f64 v[0:1], v[11:12], v[2:3], -v[0:1]
	v_mul_f64 v[6:7], v[0:1], s[2:3]
	v_mov_b32_e32 v0, s4
	v_addc_co_u32_e32 v9, vcc, v9, v0, vcc
	;; [unrolled: 16-line block ×4, first 2 shown]
	ds_read_b128 v[0:3], v48 offset:7200
	global_store_dwordx4 v[8:9], v[4:7], off
	buffer_load_dword v11, off, s[28:31], 0 offset:184 ; 4-byte Folded Reload
	buffer_load_dword v12, off, s[28:31], 0 offset:188 ; 4-byte Folded Reload
	;; [unrolled: 1-line block ×4, first 2 shown]
	v_mad_u64_u32 v[8:9], s[0:1], s0, v10, v[8:9]
	v_add_u32_e32 v9, s6, v9
	s_waitcnt vmcnt(0) lgkmcnt(0)
	v_mul_f64 v[4:5], v[13:14], v[2:3]
	v_fma_f64 v[4:5], v[11:12], v[0:1], v[4:5]
	v_mul_f64 v[0:1], v[13:14], v[0:1]
	v_mul_f64 v[4:5], v[4:5], s[2:3]
	v_fma_f64 v[0:1], v[11:12], v[2:3], -v[0:1]
	v_mul_f64 v[6:7], v[0:1], s[2:3]
	ds_read_b128 v[0:3], v48 offset:18000
	global_store_dwordx4 v[8:9], v[4:7], off
	buffer_load_dword v10, off, s[28:31], 0 offset:200 ; 4-byte Folded Reload
	buffer_load_dword v11, off, s[28:31], 0 offset:204 ; 4-byte Folded Reload
	;; [unrolled: 1-line block ×4, first 2 shown]
	v_add_co_u32_e32 v8, vcc, s5, v8
	s_waitcnt vmcnt(0) lgkmcnt(0)
	v_mul_f64 v[4:5], v[12:13], v[2:3]
	v_fma_f64 v[4:5], v[10:11], v[0:1], v[4:5]
	v_mul_f64 v[0:1], v[12:13], v[0:1]
	v_mul_f64 v[4:5], v[4:5], s[2:3]
	v_fma_f64 v[0:1], v[10:11], v[2:3], -v[0:1]
	v_mul_f64 v[6:7], v[0:1], s[2:3]
	v_mov_b32_e32 v0, s4
	v_addc_co_u32_e32 v9, vcc, v9, v0, vcc
	ds_read_b128 v[0:3], v48 offset:28800
	global_store_dwordx4 v[8:9], v[4:7], off
	buffer_load_dword v10, off, s[28:31], 0 offset:216 ; 4-byte Folded Reload
	buffer_load_dword v11, off, s[28:31], 0 offset:220 ; 4-byte Folded Reload
	;; [unrolled: 1-line block ×4, first 2 shown]
	v_add_co_u32_e32 v8, vcc, s5, v8
	s_waitcnt vmcnt(0) lgkmcnt(0)
	v_mul_f64 v[4:5], v[12:13], v[2:3]
	v_fma_f64 v[4:5], v[10:11], v[0:1], v[4:5]
	v_mul_f64 v[0:1], v[12:13], v[0:1]
	v_mul_f64 v[4:5], v[4:5], s[2:3]
	v_fma_f64 v[0:1], v[10:11], v[2:3], -v[0:1]
	v_mul_f64 v[6:7], v[0:1], s[2:3]
	v_mov_b32_e32 v0, s4
	v_addc_co_u32_e32 v9, vcc, v9, v0, vcc
	ds_read_b128 v[0:3], v48 offset:39600
	global_store_dwordx4 v[8:9], v[4:7], off
	buffer_load_dword v10, off, s[28:31], 0 offset:232 ; 4-byte Folded Reload
	buffer_load_dword v11, off, s[28:31], 0 offset:236 ; 4-byte Folded Reload
	;; [unrolled: 1-line block ×4, first 2 shown]
	s_waitcnt vmcnt(0) lgkmcnt(0)
	v_mul_f64 v[4:5], v[12:13], v[2:3]
	v_fma_f64 v[4:5], v[10:11], v[0:1], v[4:5]
	v_mul_f64 v[0:1], v[12:13], v[0:1]
	v_mul_f64 v[4:5], v[4:5], s[2:3]
	v_fma_f64 v[0:1], v[10:11], v[2:3], -v[0:1]
	v_mul_f64 v[6:7], v[0:1], s[2:3]
	v_add_co_u32_e32 v0, vcc, s5, v8
	v_mov_b32_e32 v1, s4
	v_addc_co_u32_e32 v1, vcc, v9, v1, vcc
	global_store_dwordx4 v[0:1], v[4:7], off
	ds_read_b128 v[2:5], v48 offset:50400
	buffer_load_dword v8, off, s[28:31], 0 offset:8 ; 4-byte Folded Reload
	buffer_load_dword v9, off, s[28:31], 0 offset:12 ; 4-byte Folded Reload
	;; [unrolled: 1-line block ×4, first 2 shown]
	v_add_co_u32_e32 v0, vcc, s5, v0
	s_waitcnt vmcnt(0) lgkmcnt(0)
	v_mul_f64 v[6:7], v[10:11], v[4:5]
	v_fma_f64 v[6:7], v[8:9], v[2:3], v[6:7]
	v_mul_f64 v[2:3], v[10:11], v[2:3]
	v_mul_f64 v[6:7], v[6:7], s[2:3]
	v_fma_f64 v[2:3], v[8:9], v[4:5], -v[2:3]
	v_mul_f64 v[8:9], v[2:3], s[2:3]
	v_mov_b32_e32 v2, s4
	v_addc_co_u32_e32 v1, vcc, v1, v2, vcc
	global_store_dwordx4 v[0:1], v[6:9], off
.LBB0_2:
	s_endpgm
	.section	.rodata,"a",@progbits
	.p2align	6, 0x0
	.amdhsa_kernel bluestein_single_back_len3375_dim1_dp_op_CI_CI
		.amdhsa_group_segment_fixed_size 54000
		.amdhsa_private_segment_fixed_size 560
		.amdhsa_kernarg_size 104
		.amdhsa_user_sgpr_count 6
		.amdhsa_user_sgpr_private_segment_buffer 1
		.amdhsa_user_sgpr_dispatch_ptr 0
		.amdhsa_user_sgpr_queue_ptr 0
		.amdhsa_user_sgpr_kernarg_segment_ptr 1
		.amdhsa_user_sgpr_dispatch_id 0
		.amdhsa_user_sgpr_flat_scratch_init 0
		.amdhsa_user_sgpr_private_segment_size 0
		.amdhsa_uses_dynamic_stack 0
		.amdhsa_system_sgpr_private_segment_wavefront_offset 1
		.amdhsa_system_sgpr_workgroup_id_x 1
		.amdhsa_system_sgpr_workgroup_id_y 0
		.amdhsa_system_sgpr_workgroup_id_z 0
		.amdhsa_system_sgpr_workgroup_info 0
		.amdhsa_system_vgpr_workitem_id 0
		.amdhsa_next_free_vgpr 256
		.amdhsa_next_free_sgpr 32
		.amdhsa_reserve_vcc 1
		.amdhsa_reserve_flat_scratch 0
		.amdhsa_float_round_mode_32 0
		.amdhsa_float_round_mode_16_64 0
		.amdhsa_float_denorm_mode_32 3
		.amdhsa_float_denorm_mode_16_64 3
		.amdhsa_dx10_clamp 1
		.amdhsa_ieee_mode 1
		.amdhsa_fp16_overflow 0
		.amdhsa_exception_fp_ieee_invalid_op 0
		.amdhsa_exception_fp_denorm_src 0
		.amdhsa_exception_fp_ieee_div_zero 0
		.amdhsa_exception_fp_ieee_overflow 0
		.amdhsa_exception_fp_ieee_underflow 0
		.amdhsa_exception_fp_ieee_inexact 0
		.amdhsa_exception_int_div_zero 0
	.end_amdhsa_kernel
	.text
.Lfunc_end0:
	.size	bluestein_single_back_len3375_dim1_dp_op_CI_CI, .Lfunc_end0-bluestein_single_back_len3375_dim1_dp_op_CI_CI
                                        ; -- End function
	.section	.AMDGPU.csdata,"",@progbits
; Kernel info:
; codeLenInByte = 26424
; NumSgprs: 36
; NumVgprs: 256
; ScratchSize: 560
; MemoryBound: 0
; FloatMode: 240
; IeeeMode: 1
; LDSByteSize: 54000 bytes/workgroup (compile time only)
; SGPRBlocks: 4
; VGPRBlocks: 63
; NumSGPRsForWavesPerEU: 36
; NumVGPRsForWavesPerEU: 256
; Occupancy: 1
; WaveLimiterHint : 1
; COMPUTE_PGM_RSRC2:SCRATCH_EN: 1
; COMPUTE_PGM_RSRC2:USER_SGPR: 6
; COMPUTE_PGM_RSRC2:TRAP_HANDLER: 0
; COMPUTE_PGM_RSRC2:TGID_X_EN: 1
; COMPUTE_PGM_RSRC2:TGID_Y_EN: 0
; COMPUTE_PGM_RSRC2:TGID_Z_EN: 0
; COMPUTE_PGM_RSRC2:TIDIG_COMP_CNT: 0
	.type	__hip_cuid_bb9dff1b0c7b2039,@object ; @__hip_cuid_bb9dff1b0c7b2039
	.section	.bss,"aw",@nobits
	.globl	__hip_cuid_bb9dff1b0c7b2039
__hip_cuid_bb9dff1b0c7b2039:
	.byte	0                               ; 0x0
	.size	__hip_cuid_bb9dff1b0c7b2039, 1

	.ident	"AMD clang version 19.0.0git (https://github.com/RadeonOpenCompute/llvm-project roc-6.4.0 25133 c7fe45cf4b819c5991fe208aaa96edf142730f1d)"
	.section	".note.GNU-stack","",@progbits
	.addrsig
	.addrsig_sym __hip_cuid_bb9dff1b0c7b2039
	.amdgpu_metadata
---
amdhsa.kernels:
  - .args:
      - .actual_access:  read_only
        .address_space:  global
        .offset:         0
        .size:           8
        .value_kind:     global_buffer
      - .actual_access:  read_only
        .address_space:  global
        .offset:         8
        .size:           8
        .value_kind:     global_buffer
      - .actual_access:  read_only
        .address_space:  global
        .offset:         16
        .size:           8
        .value_kind:     global_buffer
      - .actual_access:  read_only
        .address_space:  global
        .offset:         24
        .size:           8
        .value_kind:     global_buffer
      - .actual_access:  read_only
        .address_space:  global
        .offset:         32
        .size:           8
        .value_kind:     global_buffer
      - .offset:         40
        .size:           8
        .value_kind:     by_value
      - .address_space:  global
        .offset:         48
        .size:           8
        .value_kind:     global_buffer
      - .address_space:  global
        .offset:         56
        .size:           8
        .value_kind:     global_buffer
      - .address_space:  global
        .offset:         64
        .size:           8
        .value_kind:     global_buffer
      - .address_space:  global
        .offset:         72
        .size:           8
        .value_kind:     global_buffer
      - .offset:         80
        .size:           4
        .value_kind:     by_value
      - .address_space:  global
        .offset:         88
        .size:           8
        .value_kind:     global_buffer
      - .address_space:  global
        .offset:         96
        .size:           8
        .value_kind:     global_buffer
    .group_segment_fixed_size: 54000
    .kernarg_segment_align: 8
    .kernarg_segment_size: 104
    .language:       OpenCL C
    .language_version:
      - 2
      - 0
    .max_flat_workgroup_size: 225
    .name:           bluestein_single_back_len3375_dim1_dp_op_CI_CI
    .private_segment_fixed_size: 560
    .sgpr_count:     36
    .sgpr_spill_count: 0
    .symbol:         bluestein_single_back_len3375_dim1_dp_op_CI_CI.kd
    .uniform_work_group_size: 1
    .uses_dynamic_stack: false
    .vgpr_count:     256
    .vgpr_spill_count: 139
    .wavefront_size: 64
amdhsa.target:   amdgcn-amd-amdhsa--gfx906
amdhsa.version:
  - 1
  - 2
...

	.end_amdgpu_metadata
